;; amdgpu-corpus repo=ROCm/rocFFT kind=compiled arch=gfx950 opt=O3
	.text
	.amdgcn_target "amdgcn-amd-amdhsa--gfx950"
	.amdhsa_code_object_version 6
	.protected	fft_rtc_fwd_len1300_factors_10_10_13_wgs_130_tpt_130_sp_ip_CI_unitstride_sbrr_R2C_dirReg ; -- Begin function fft_rtc_fwd_len1300_factors_10_10_13_wgs_130_tpt_130_sp_ip_CI_unitstride_sbrr_R2C_dirReg
	.globl	fft_rtc_fwd_len1300_factors_10_10_13_wgs_130_tpt_130_sp_ip_CI_unitstride_sbrr_R2C_dirReg
	.p2align	8
	.type	fft_rtc_fwd_len1300_factors_10_10_13_wgs_130_tpt_130_sp_ip_CI_unitstride_sbrr_R2C_dirReg,@function
fft_rtc_fwd_len1300_factors_10_10_13_wgs_130_tpt_130_sp_ip_CI_unitstride_sbrr_R2C_dirReg: ; @fft_rtc_fwd_len1300_factors_10_10_13_wgs_130_tpt_130_sp_ip_CI_unitstride_sbrr_R2C_dirReg
; %bb.0:
	s_load_dwordx2 s[8:9], s[0:1], 0x50
	s_load_dwordx4 s[4:7], s[0:1], 0x0
	s_load_dwordx2 s[10:11], s[0:1], 0x18
	v_mul_u32_u24_e32 v1, 0x1f9, v0
	v_add_u32_sdwa v6, s2, v1 dst_sel:DWORD dst_unused:UNUSED_PAD src0_sel:DWORD src1_sel:WORD_1
	v_mov_b32_e32 v4, 0
	s_waitcnt lgkmcnt(0)
	v_cmp_lt_u64_e64 s[2:3], s[6:7], 2
	v_mov_b32_e32 v7, v4
	s_and_b64 vcc, exec, s[2:3]
	v_mov_b64_e32 v[2:3], 0
	s_cbranch_vccnz .LBB0_8
; %bb.1:
	s_load_dwordx2 s[2:3], s[0:1], 0x10
	s_add_u32 s12, s10, 8
	s_addc_u32 s13, s11, 0
	s_mov_b64 s[14:15], 1
	v_mov_b64_e32 v[2:3], 0
	s_waitcnt lgkmcnt(0)
	s_add_u32 s16, s2, 8
	s_addc_u32 s17, s3, 0
.LBB0_2:                                ; =>This Inner Loop Header: Depth=1
	s_load_dwordx2 s[18:19], s[16:17], 0x0
                                        ; implicit-def: $vgpr8_vgpr9
	s_waitcnt lgkmcnt(0)
	v_or_b32_e32 v5, s19, v7
	v_cmp_ne_u64_e32 vcc, 0, v[4:5]
	s_and_saveexec_b64 s[2:3], vcc
	s_xor_b64 s[20:21], exec, s[2:3]
	s_cbranch_execz .LBB0_4
; %bb.3:                                ;   in Loop: Header=BB0_2 Depth=1
	v_cvt_f32_u32_e32 v1, s18
	v_cvt_f32_u32_e32 v5, s19
	s_sub_u32 s2, 0, s18
	s_subb_u32 s3, 0, s19
	v_fmac_f32_e32 v1, 0x4f800000, v5
	v_rcp_f32_e32 v1, v1
	s_nop 0
	v_mul_f32_e32 v1, 0x5f7ffffc, v1
	v_mul_f32_e32 v5, 0x2f800000, v1
	v_trunc_f32_e32 v5, v5
	v_fmac_f32_e32 v1, 0xcf800000, v5
	v_cvt_u32_f32_e32 v5, v5
	v_cvt_u32_f32_e32 v1, v1
	v_mul_lo_u32 v8, s2, v5
	v_mul_hi_u32 v10, s2, v1
	v_mul_lo_u32 v9, s3, v1
	v_add_u32_e32 v10, v10, v8
	v_mul_lo_u32 v12, s2, v1
	v_add_u32_e32 v13, v10, v9
	v_mul_hi_u32 v8, v1, v12
	v_mul_hi_u32 v11, v1, v13
	v_mul_lo_u32 v10, v1, v13
	v_mov_b32_e32 v9, v4
	v_lshl_add_u64 v[8:9], v[8:9], 0, v[10:11]
	v_mul_hi_u32 v11, v5, v12
	v_mul_lo_u32 v12, v5, v12
	v_add_co_u32_e32 v8, vcc, v8, v12
	v_mul_hi_u32 v10, v5, v13
	s_nop 0
	v_addc_co_u32_e32 v8, vcc, v9, v11, vcc
	v_mov_b32_e32 v9, v4
	s_nop 0
	v_addc_co_u32_e32 v11, vcc, 0, v10, vcc
	v_mul_lo_u32 v10, v5, v13
	v_lshl_add_u64 v[8:9], v[8:9], 0, v[10:11]
	v_add_co_u32_e32 v1, vcc, v1, v8
	v_mul_lo_u32 v10, s2, v1
	s_nop 0
	v_addc_co_u32_e32 v5, vcc, v5, v9, vcc
	v_mul_lo_u32 v8, s2, v5
	v_mul_hi_u32 v9, s2, v1
	v_add_u32_e32 v8, v9, v8
	v_mul_lo_u32 v9, s3, v1
	v_add_u32_e32 v12, v8, v9
	v_mul_hi_u32 v14, v5, v10
	v_mul_lo_u32 v15, v5, v10
	v_mul_hi_u32 v9, v1, v12
	v_mul_lo_u32 v8, v1, v12
	v_mul_hi_u32 v10, v1, v10
	v_mov_b32_e32 v11, v4
	v_lshl_add_u64 v[8:9], v[10:11], 0, v[8:9]
	v_add_co_u32_e32 v8, vcc, v8, v15
	v_mul_hi_u32 v13, v5, v12
	s_nop 0
	v_addc_co_u32_e32 v8, vcc, v9, v14, vcc
	v_mul_lo_u32 v10, v5, v12
	s_nop 0
	v_addc_co_u32_e32 v11, vcc, 0, v13, vcc
	v_mov_b32_e32 v9, v4
	v_lshl_add_u64 v[8:9], v[8:9], 0, v[10:11]
	v_add_co_u32_e32 v1, vcc, v1, v8
	v_mul_hi_u32 v10, v6, v1
	s_nop 0
	v_addc_co_u32_e32 v5, vcc, v5, v9, vcc
	v_mad_u64_u32 v[8:9], s[2:3], v6, v5, 0
	v_mov_b32_e32 v11, v4
	v_lshl_add_u64 v[8:9], v[10:11], 0, v[8:9]
	v_mad_u64_u32 v[12:13], s[2:3], v7, v1, 0
	v_add_co_u32_e32 v1, vcc, v8, v12
	v_mad_u64_u32 v[10:11], s[2:3], v7, v5, 0
	s_nop 0
	v_addc_co_u32_e32 v8, vcc, v9, v13, vcc
	v_mov_b32_e32 v9, v4
	s_nop 0
	v_addc_co_u32_e32 v11, vcc, 0, v11, vcc
	v_lshl_add_u64 v[8:9], v[8:9], 0, v[10:11]
	v_mul_lo_u32 v1, s19, v8
	v_mul_lo_u32 v5, s18, v9
	v_mad_u64_u32 v[10:11], s[2:3], s18, v8, 0
	v_add3_u32 v1, v11, v5, v1
	v_sub_u32_e32 v5, v7, v1
	v_mov_b32_e32 v11, s19
	v_sub_co_u32_e32 v14, vcc, v6, v10
	v_lshl_add_u64 v[12:13], v[8:9], 0, 1
	s_nop 0
	v_subb_co_u32_e64 v5, s[2:3], v5, v11, vcc
	v_subrev_co_u32_e64 v10, s[2:3], s18, v14
	v_subb_co_u32_e32 v1, vcc, v7, v1, vcc
	s_nop 0
	v_subbrev_co_u32_e64 v5, s[2:3], 0, v5, s[2:3]
	v_cmp_le_u32_e64 s[2:3], s19, v5
	v_cmp_le_u32_e32 vcc, s19, v1
	s_nop 0
	v_cndmask_b32_e64 v11, 0, -1, s[2:3]
	v_cmp_le_u32_e64 s[2:3], s18, v10
	s_nop 1
	v_cndmask_b32_e64 v10, 0, -1, s[2:3]
	v_cmp_eq_u32_e64 s[2:3], s19, v5
	s_nop 1
	v_cndmask_b32_e64 v5, v11, v10, s[2:3]
	v_lshl_add_u64 v[10:11], v[8:9], 0, 2
	v_cmp_ne_u32_e64 s[2:3], 0, v5
	s_nop 1
	v_cndmask_b32_e64 v5, v13, v11, s[2:3]
	v_cndmask_b32_e64 v11, 0, -1, vcc
	v_cmp_le_u32_e32 vcc, s18, v14
	s_nop 1
	v_cndmask_b32_e64 v13, 0, -1, vcc
	v_cmp_eq_u32_e32 vcc, s19, v1
	s_nop 1
	v_cndmask_b32_e32 v1, v11, v13, vcc
	v_cmp_ne_u32_e32 vcc, 0, v1
	v_cndmask_b32_e64 v1, v12, v10, s[2:3]
	s_nop 0
	v_cndmask_b32_e32 v9, v9, v5, vcc
	v_cndmask_b32_e32 v8, v8, v1, vcc
.LBB0_4:                                ;   in Loop: Header=BB0_2 Depth=1
	s_andn2_saveexec_b64 s[2:3], s[20:21]
	s_cbranch_execz .LBB0_6
; %bb.5:                                ;   in Loop: Header=BB0_2 Depth=1
	v_cvt_f32_u32_e32 v1, s18
	s_sub_i32 s20, 0, s18
	v_rcp_iflag_f32_e32 v1, v1
	s_nop 0
	v_mul_f32_e32 v1, 0x4f7ffffe, v1
	v_cvt_u32_f32_e32 v1, v1
	v_mul_lo_u32 v5, s20, v1
	v_mul_hi_u32 v5, v1, v5
	v_add_u32_e32 v1, v1, v5
	v_mul_hi_u32 v1, v6, v1
	v_mul_lo_u32 v5, v1, s18
	v_sub_u32_e32 v5, v6, v5
	v_add_u32_e32 v8, 1, v1
	v_subrev_u32_e32 v9, s18, v5
	v_cmp_le_u32_e32 vcc, s18, v5
	s_nop 1
	v_cndmask_b32_e32 v5, v5, v9, vcc
	v_cndmask_b32_e32 v1, v1, v8, vcc
	v_add_u32_e32 v8, 1, v1
	v_cmp_le_u32_e32 vcc, s18, v5
	v_mov_b32_e32 v9, v4
	s_nop 0
	v_cndmask_b32_e32 v8, v1, v8, vcc
.LBB0_6:                                ;   in Loop: Header=BB0_2 Depth=1
	s_or_b64 exec, exec, s[2:3]
	v_mad_u64_u32 v[10:11], s[2:3], v8, s18, 0
	s_load_dwordx2 s[2:3], s[12:13], 0x0
	v_mul_lo_u32 v1, v9, s18
	v_mul_lo_u32 v5, v8, s19
	v_add3_u32 v1, v11, v5, v1
	v_sub_co_u32_e32 v5, vcc, v6, v10
	s_add_u32 s14, s14, 1
	s_nop 0
	v_subb_co_u32_e32 v1, vcc, v7, v1, vcc
	s_addc_u32 s15, s15, 0
	s_waitcnt lgkmcnt(0)
	v_mul_lo_u32 v1, s2, v1
	v_mul_lo_u32 v6, s3, v5
	v_mad_u64_u32 v[2:3], s[2:3], s2, v5, v[2:3]
	s_add_u32 s12, s12, 8
	v_add3_u32 v3, v6, v3, v1
	s_addc_u32 s13, s13, 0
	v_mov_b64_e32 v[6:7], s[6:7]
	s_add_u32 s16, s16, 8
	v_cmp_ge_u64_e32 vcc, s[14:15], v[6:7]
	s_addc_u32 s17, s17, 0
	s_cbranch_vccnz .LBB0_9
; %bb.7:                                ;   in Loop: Header=BB0_2 Depth=1
	v_mov_b64_e32 v[6:7], v[8:9]
	s_branch .LBB0_2
.LBB0_8:
	v_mov_b64_e32 v[8:9], v[6:7]
.LBB0_9:
	s_lshl_b64 s[2:3], s[6:7], 3
	s_add_u32 s2, s10, s2
	s_addc_u32 s3, s11, s3
	s_load_dwordx2 s[6:7], s[2:3], 0x0
	s_load_dwordx2 s[10:11], s[0:1], 0x20
	s_mov_b32 s2, 0x1f81f82
	s_waitcnt lgkmcnt(0)
	v_mul_lo_u32 v1, s6, v9
	v_mul_lo_u32 v4, s7, v8
	v_mad_u64_u32 v[2:3], s[0:1], s6, v8, v[2:3]
	v_add3_u32 v3, v4, v3, v1
	v_mul_hi_u32 v1, v0, s2
	v_mul_u32_u24_e32 v1, 0x82, v1
	v_sub_u32_e32 v26, v0, v1
	v_cmp_gt_u64_e64 s[0:1], s[10:11], v[8:9]
	v_lshl_add_u64 v[24:25], v[2:3], 3, s[8:9]
	v_lshl_add_u32 v120, v26, 3, 0
	s_and_saveexec_b64 s[2:3], s[0:1]
	s_cbranch_execz .LBB0_11
; %bb.10:
	v_mov_b32_e32 v27, 0
	v_lshl_add_u64 v[0:1], v[26:27], 3, v[24:25]
	v_add_co_u32_e32 v10, vcc, 0x1000, v0
	global_load_dwordx2 v[2:3], v[0:1], off
	global_load_dwordx2 v[4:5], v[0:1], off offset:1040
	global_load_dwordx2 v[6:7], v[0:1], off offset:2080
	;; [unrolled: 1-line block ×3, first 2 shown]
	v_addc_co_u32_e32 v11, vcc, 0, v1, vcc
	v_add_co_u32_e32 v0, vcc, 0x2000, v0
	global_load_dwordx2 v[12:13], v[10:11], off offset:64
	global_load_dwordx2 v[14:15], v[10:11], off offset:1104
	;; [unrolled: 1-line block ×4, first 2 shown]
	v_addc_co_u32_e32 v1, vcc, 0, v1, vcc
	global_load_dwordx2 v[10:11], v[0:1], off offset:128
	global_load_dwordx2 v[20:21], v[0:1], off offset:1168
	v_add_u32_e32 v0, 0x800, v120
	v_add_u32_e32 v1, 0x1000, v120
	;; [unrolled: 1-line block ×3, first 2 shown]
	s_waitcnt vmcnt(8)
	ds_write2_b64 v120, v[2:3], v[4:5] offset1:130
	s_waitcnt vmcnt(6)
	ds_write2_b64 v0, v[6:7], v[8:9] offset0:4 offset1:134
	s_waitcnt vmcnt(4)
	ds_write2_b64 v1, v[12:13], v[14:15] offset0:8 offset1:138
	;; [unrolled: 2-line block ×3, first 2 shown]
	v_add_u32_e32 v0, 0x2000, v120
	s_waitcnt vmcnt(0)
	ds_write2_b64 v0, v[10:11], v[20:21] offset0:16 offset1:146
.LBB0_11:
	s_or_b64 exec, exec, s[2:3]
	v_add_u32_e32 v23, 0x800, v120
	v_add_u32_e32 v21, 0x1000, v120
	;; [unrolled: 1-line block ×4, first 2 shown]
	s_waitcnt lgkmcnt(0)
	s_barrier
	ds_read2_b64 v[4:7], v23 offset0:4 offset1:134
	ds_read2_b64 v[8:11], v21 offset0:8 offset1:138
	;; [unrolled: 1-line block ×4, first 2 shown]
	ds_read2_b64 v[0:3], v120 offset1:130
	s_movk_i32 s2, 0x48
	v_mad_u32_u24 v27, v26, s2, v120
	s_waitcnt lgkmcnt(2)
	v_pk_add_f32 v[32:33], v[8:9], v[12:13]
	s_waitcnt lgkmcnt(1)
	v_pk_add_f32 v[34:35], v[4:5], v[16:17] neg_lo:[0,1] neg_hi:[0,1]
	s_mov_b32 s2, 0x3f737871
	s_waitcnt lgkmcnt(0)
	v_pk_add_f32 v[28:29], v[0:1], v[4:5]
	v_pk_fma_f32 v[32:33], v[32:33], 0.5, v[0:1] op_sel_hi:[1,0,1] neg_lo:[1,0,0] neg_hi:[1,0,0]
	v_pk_mul_f32 v[36:37], v[34:35], s[2:3] op_sel_hi:[1,0]
	v_pk_add_f32 v[38:39], v[8:9], v[12:13] neg_lo:[0,1] neg_hi:[0,1]
	s_mov_b32 s8, 0x3f167918
	v_pk_add_f32 v[42:43], v[4:5], v[8:9] neg_lo:[0,1] neg_hi:[0,1]
	v_pk_add_f32 v[44:45], v[16:17], v[12:13] neg_lo:[0,1] neg_hi:[0,1]
	v_pk_add_f32 v[28:29], v[28:29], v[8:9]
	v_pk_mul_f32 v[40:41], v[38:39], s[8:9] op_sel_hi:[1,0]
	v_pk_add_f32 v[42:43], v[42:43], v[44:45]
	v_pk_add_f32 v[44:45], v[32:33], v[36:37] op_sel:[0,1] op_sel_hi:[1,0]
	v_pk_add_f32 v[32:33], v[32:33], v[36:37] op_sel:[0,1] op_sel_hi:[1,0] neg_lo:[0,1] neg_hi:[0,1]
	v_pk_add_f32 v[28:29], v[28:29], v[12:13]
	v_pk_add_f32 v[32:33], v[32:33], v[40:41] op_sel:[0,1] op_sel_hi:[1,0] neg_lo:[0,1] neg_hi:[0,1]
	v_pk_add_f32 v[36:37], v[44:45], v[40:41] op_sel:[0,1] op_sel_hi:[1,0]
	v_pk_add_f32 v[8:9], v[8:9], v[4:5] neg_lo:[0,1] neg_hi:[0,1]
	v_pk_add_f32 v[12:13], v[12:13], v[16:17] neg_lo:[0,1] neg_hi:[0,1]
	;; [unrolled: 1-line block ×3, first 2 shown]
	v_pk_add_f32 v[44:45], v[6:7], v[18:19]
	v_pk_add_f32 v[8:9], v[8:9], v[12:13]
	v_pk_add_f32 v[12:13], v[6:7], v[18:19] neg_lo:[0,1] neg_hi:[0,1]
	v_pk_fma_f32 v[44:45], v[44:45], 0.5, v[2:3] op_sel_hi:[1,0,1] neg_lo:[1,0,0] neg_hi:[1,0,0]
	v_pk_mul_f32 v[46:47], v[40:41], s[2:3] op_sel_hi:[1,0]
	v_pk_add_f32 v[50:51], v[10:11], v[6:7] neg_lo:[0,1] neg_hi:[0,1]
	v_pk_add_f32 v[52:53], v[14:15], v[18:19] neg_lo:[0,1] neg_hi:[0,1]
	v_pk_mul_f32 v[48:49], v[12:13], s[8:9] op_sel_hi:[1,0]
	v_pk_add_f32 v[50:51], v[50:51], v[52:53]
	v_pk_add_f32 v[52:53], v[44:45], v[46:47] op_sel:[0,1] op_sel_hi:[1,0] neg_lo:[0,1] neg_hi:[0,1]
	v_pk_add_f32 v[44:45], v[44:45], v[46:47] op_sel:[0,1] op_sel_hi:[1,0]
	v_pk_add_f32 v[46:47], v[52:53], v[48:49] op_sel:[0,1] op_sel_hi:[1,0]
	v_pk_add_f32 v[44:45], v[44:45], v[48:49] op_sel:[0,1] op_sel_hi:[1,0] neg_lo:[0,1] neg_hi:[0,1]
	v_pk_add_f32 v[4:5], v[4:5], v[16:17]
	s_mov_b32 s6, 0x3e9e377a
	v_mov_b32_e32 v48, v46
	v_mov_b32_e32 v49, v45
	v_pk_fma_f32 v[0:1], v[4:5], 0.5, v[0:1] op_sel_hi:[1,0,1] neg_lo:[1,0,0] neg_hi:[1,0,0]
	v_pk_mul_f32 v[4:5], v[38:39], s[2:3] op_sel_hi:[1,0]
	v_pk_add_f32 v[28:29], v[28:29], v[16:17]
	v_pk_fma_f32 v[48:49], v[50:51], s[6:7], v[48:49] op_sel_hi:[1,0,1]
	v_pk_add_f32 v[16:17], v[0:1], v[4:5] op_sel:[0,1] op_sel_hi:[1,0] neg_lo:[0,1] neg_hi:[0,1]
	v_pk_add_f32 v[0:1], v[0:1], v[4:5] op_sel:[0,1] op_sel_hi:[1,0]
	v_pk_mul_f32 v[34:35], v[34:35], s[8:9] op_sel_hi:[1,0]
	v_mov_b32_e32 v45, v47
	v_pk_mul_f32 v[52:53], v[48:49], s[2:3] op_sel_hi:[1,0]
	v_pk_add_f32 v[0:1], v[0:1], v[34:35] op_sel:[0,1] op_sel_hi:[1,0] neg_lo:[0,1] neg_hi:[0,1]
	v_pk_add_f32 v[16:17], v[16:17], v[34:35] op_sel:[0,1] op_sel_hi:[1,0]
	v_pk_fma_f32 v[44:45], v[50:51], s[6:7], v[44:45] op_sel_hi:[1,0,1]
	v_pk_fma_f32 v[54:55], v[48:49], s[6:7], v[52:53] op_sel:[0,0,1] op_sel_hi:[1,0,0]
	v_pk_fma_f32 v[48:49], v[48:49], s[6:7], v[52:53] op_sel:[0,0,1] op_sel_hi:[1,0,0] neg_lo:[0,0,1] neg_hi:[0,0,1]
	v_mov_b32_e32 v38, v16
	v_mov_b32_e32 v39, v1
	s_mov_b32 s10, 0xbf737871
	s_mov_b32 s11, s2
	v_pk_mul_f32 v[46:47], v[44:45], s[6:7] op_sel_hi:[1,0]
	v_mov_b32_e32 v1, v17
	v_mov_b32_e32 v55, v49
	v_pk_fma_f32 v[38:39], v[8:9], s[6:7], v[38:39] op_sel_hi:[1,0,1]
	v_pk_fma_f32 v[44:45], v[44:45], s[10:11], v[46:47] op_sel:[0,0,1] op_sel_hi:[1,1,0] neg_lo:[0,0,1] neg_hi:[0,0,1]
	v_pk_fma_f32 v[0:1], v[8:9], s[6:7], v[0:1] op_sel_hi:[1,0,1]
	v_pk_add_f32 v[46:47], v[38:39], v[54:55]
	v_pk_add_f32 v[8:9], v[0:1], v[44:45] op_sel:[0,1] op_sel_hi:[1,0]
	v_pk_add_f32 v[30:31], v[2:3], v[6:7]
	s_barrier
	ds_write2_b64 v27, v[46:47], v[8:9] offset0:2 offset1:3
	v_pk_add_f32 v[8:9], v[10:11], v[14:15]
	v_pk_add_f32 v[30:31], v[30:31], v[10:11]
	v_pk_fma_f32 v[2:3], v[8:9], 0.5, v[2:3] op_sel_hi:[1,0,1] neg_lo:[1,0,0] neg_hi:[1,0,0]
	v_pk_add_f32 v[6:7], v[6:7], v[10:11] neg_lo:[0,1] neg_hi:[0,1]
	v_pk_mul_f32 v[10:11], v[12:13], s[2:3] op_sel_hi:[1,0]
	v_pk_add_f32 v[30:31], v[30:31], v[14:15]
	v_pk_add_f32 v[8:9], v[18:19], v[14:15] neg_lo:[0,1] neg_hi:[0,1]
	v_pk_add_f32 v[12:13], v[2:3], v[10:11] op_sel:[0,1] op_sel_hi:[1,0]
	v_pk_mul_f32 v[14:15], v[40:41], s[8:9] op_sel_hi:[1,0]
	v_pk_add_f32 v[2:3], v[2:3], v[10:11] op_sel:[0,1] op_sel_hi:[1,0] neg_lo:[0,1] neg_hi:[0,1]
	v_pk_add_f32 v[6:7], v[6:7], v[8:9]
	v_pk_add_f32 v[12:13], v[14:15], v[12:13] op_sel:[1,0] op_sel_hi:[0,1]
	v_pk_add_f32 v[2:3], v[2:3], v[14:15] op_sel:[0,1] op_sel_hi:[1,0] neg_lo:[0,1] neg_hi:[0,1]
	s_mov_b32 s14, 0x3f4f1bbd
	v_pk_fma_f32 v[10:11], v[6:7], s[6:7], v[2:3] op_sel_hi:[1,0,1]
	v_mov_b32_e32 v3, v13
	v_pk_fma_f32 v[2:3], v[6:7], s[6:7], v[2:3] op_sel_hi:[1,0,1]
	v_pk_fma_f32 v[16:17], v[6:7], s[6:7], v[12:13] op_sel_hi:[1,0,1]
	s_mov_b32 s12, 0xbf167918
	s_mov_b32 s13, s8
	v_pk_mul_f32 v[6:7], v[2:3], s[14:15] op_sel_hi:[1,0]
	s_mov_b32 s15, s8
	v_pk_fma_f32 v[2:3], v[2:3], s[12:13], v[6:7] op_sel:[0,0,1] op_sel_hi:[1,1,0] neg_lo:[0,0,1] neg_hi:[0,0,1]
	v_pk_mul_f32 v[6:7], v[16:17], s[14:15] op_sel_hi:[0,1]
	s_mov_b32 s9, s14
	v_mov_b32_e32 v34, v36
	v_mov_b32_e32 v35, v33
	;; [unrolled: 1-line block ×3, first 2 shown]
	v_pk_fma_f32 v[12:13], v[10:11], s[8:9], v[6:7] op_sel:[1,0,0]
	v_pk_fma_f32 v[6:7], v[10:11], s[8:9], v[6:7] op_sel:[1,0,0] neg_lo:[0,0,1] neg_hi:[0,0,1]
	v_pk_add_f32 v[30:31], v[30:31], v[18:19]
	v_pk_fma_f32 v[34:35], v[42:43], s[6:7], v[34:35] op_sel_hi:[1,0,1]
	v_pk_fma_f32 v[8:9], v[42:43], s[6:7], v[32:33] op_sel_hi:[1,0,1]
	v_mov_b32_e32 v13, v7
	v_pk_add_f32 v[4:5], v[28:29], v[30:31]
	v_pk_add_f32 v[6:7], v[34:35], v[12:13]
	v_pk_add_f32 v[10:11], v[8:9], v[2:3] op_sel:[1,0] op_sel_hi:[0,1]
	ds_write2_b64 v27, v[4:5], v[6:7] offset1:1
	v_pk_add_f32 v[4:5], v[28:29], v[30:31] neg_lo:[0,1] neg_hi:[0,1]
	v_mov_b32_e32 v6, v11
	v_mov_b32_e32 v7, v10
	ds_write2_b64 v27, v[6:7], v[4:5] offset0:4 offset1:5
	v_pk_add_f32 v[4:5], v[34:35], v[12:13] neg_lo:[0,1] neg_hi:[0,1]
	v_pk_add_f32 v[6:7], v[38:39], v[54:55] neg_lo:[0,1] neg_hi:[0,1]
	v_pk_add_f32 v[2:3], v[8:9], v[2:3] op_sel:[1,0] op_sel_hi:[0,1] neg_lo:[0,1] neg_hi:[0,1]
	ds_write2_b64 v27, v[4:5], v[6:7] offset0:6 offset1:7
	v_pk_add_f32 v[0:1], v[0:1], v[44:45] op_sel:[0,1] op_sel_hi:[1,0] neg_lo:[0,1] neg_hi:[0,1]
	v_mov_b32_e32 v4, v3
	v_mov_b32_e32 v5, v2
	s_movk_i32 s3, 0xcd
	ds_write2_b64 v27, v[0:1], v[4:5] offset0:8 offset1:9
	v_mul_lo_u16_sdwa v0, v26, s3 dst_sel:DWORD dst_unused:UNUSED_PAD src0_sel:BYTE_0 src1_sel:DWORD
	v_lshrrev_b16_e32 v27, 11, v0
	v_mul_lo_u16_e32 v0, 10, v27
	v_sub_u16_e32 v60, v26, v0
	v_mov_b32_e32 v0, 9
	v_mul_u32_u24_sdwa v0, v60, v0 dst_sel:DWORD dst_unused:UNUSED_PAD src0_sel:BYTE_0 src1_sel:DWORD
	v_lshlrev_b32_e32 v16, 3, v0
	s_waitcnt lgkmcnt(0)
	s_barrier
	global_load_dwordx4 v[0:3], v16, s[4:5] offset:48
	global_load_dwordx2 v[40:41], v16, s[4:5] offset:64
	global_load_dwordx4 v[4:7], v16, s[4:5]
	global_load_dwordx4 v[8:11], v16, s[4:5] offset:16
	global_load_dwordx4 v[12:15], v16, s[4:5] offset:32
	ds_read2_b64 v[16:19], v22 offset0:16 offset1:146
	ds_read2_b64 v[28:31], v120 offset1:130
	ds_read2_b64 v[32:35], v23 offset0:4 offset1:134
	ds_read2_b64 v[36:39], v21 offset0:8 offset1:138
	s_waitcnt vmcnt(4)
	v_mov_b32_e32 v22, v3
	s_waitcnt lgkmcnt(3)
	v_pk_mul_f32 v[42:43], v[16:17], v[22:23] op_sel_hi:[1,0]
	s_waitcnt vmcnt(0)
	v_mov_b32_e32 v22, v15
	v_pk_fma_f32 v[44:45], v[16:17], v[2:3], v[42:43] op_sel:[0,0,1] op_sel_hi:[1,1,0] neg_lo:[0,0,1] neg_hi:[0,0,1]
	v_pk_fma_f32 v[2:3], v[16:17], v[2:3], v[42:43] op_sel:[0,0,1] op_sel_hi:[1,0,0]
	s_nop 0
	v_mov_b32_e32 v45, v3
	v_pk_mul_f32 v[2:3], v[18:19], v[40:41] op_sel:[0,1]
	s_nop 0
	v_pk_fma_f32 v[42:43], v[18:19], v[40:41], v[2:3] op_sel:[0,0,1] op_sel_hi:[1,1,0] neg_lo:[0,0,1] neg_hi:[0,0,1]
	v_pk_fma_f32 v[2:3], v[18:19], v[40:41], v[2:3] op_sel:[0,0,1] op_sel_hi:[1,0,0]
	ds_read2_b64 v[16:19], v20 offset0:12 offset1:142
	s_waitcnt lgkmcnt(3)
	v_pk_mul_f32 v[40:41], v[4:5], v[30:31] op_sel_hi:[1,0]
	v_mov_b32_e32 v43, v3
	v_pk_fma_f32 v[46:47], v[4:5], v[30:31], v[40:41] op_sel:[0,1,1] op_sel_hi:[1,1,0] neg_lo:[1,0,0] neg_hi:[1,0,0]
	v_pk_fma_f32 v[4:5], v[4:5], v[30:31], v[40:41] op_sel:[0,1,1] op_sel_hi:[1,1,0]
	s_waitcnt lgkmcnt(2)
	v_pk_mul_f32 v[30:31], v[6:7], v[32:33] op_sel:[0,1]
	v_mov_b32_e32 v2, v3
	v_pk_fma_f32 v[40:41], v[6:7], v[32:33], v[30:31] op_sel:[0,0,1] op_sel_hi:[1,0,0]
	v_pk_fma_f32 v[6:7], v[6:7], v[32:33], v[30:31] op_sel:[0,0,1] op_sel_hi:[1,0,0] neg_lo:[0,0,1] neg_hi:[0,0,1]
	v_pk_mul_f32 v[30:31], v[8:9], v[34:35] op_sel_hi:[1,0]
	v_mov_b32_e32 v3, v42
	v_pk_fma_f32 v[32:33], v[8:9], v[34:35], v[30:31] op_sel:[0,1,1] op_sel_hi:[1,1,0] neg_lo:[1,0,0] neg_hi:[1,0,0]
	v_pk_fma_f32 v[8:9], v[8:9], v[34:35], v[30:31] op_sel:[0,1,1] op_sel_hi:[1,1,0]
	s_waitcnt lgkmcnt(1)
	v_pk_mul_f32 v[30:31], v[10:11], v[36:37] op_sel:[0,1]
	v_mov_b32_e32 v5, v47
	v_pk_fma_f32 v[34:35], v[10:11], v[36:37], v[30:31] op_sel:[0,0,1] op_sel_hi:[1,0,0]
	v_pk_fma_f32 v[10:11], v[10:11], v[36:37], v[30:31] op_sel:[0,0,1] op_sel_hi:[1,0,0] neg_lo:[0,0,1] neg_hi:[0,0,1]
	v_pk_mul_f32 v[30:31], v[12:13], v[38:39] op_sel_hi:[1,0]
	v_mov_b32_e32 v11, v35
	v_pk_fma_f32 v[34:35], v[12:13], v[38:39], v[30:31] op_sel:[0,1,1] op_sel_hi:[1,1,0] neg_lo:[1,0,0] neg_hi:[1,0,0]
	v_pk_fma_f32 v[12:13], v[12:13], v[38:39], v[30:31] op_sel:[0,1,1] op_sel_hi:[1,1,0]
	s_waitcnt lgkmcnt(0)
	v_pk_mul_f32 v[30:31], v[16:17], v[22:23] op_sel_hi:[1,0]
	v_mov_b32_e32 v9, v33
	v_pk_fma_f32 v[36:37], v[16:17], v[14:15], v[30:31] op_sel:[0,0,1] op_sel_hi:[1,0,0]
	v_pk_fma_f32 v[14:15], v[16:17], v[14:15], v[30:31] op_sel:[0,0,1] op_sel_hi:[1,0,0] neg_lo:[0,0,1] neg_hi:[0,0,1]
	v_pk_mul_f32 v[16:17], v[18:19], v[0:1] op_sel_hi:[1,0]
	v_mov_b32_e32 v13, v35
	v_pk_fma_f32 v[30:31], v[18:19], v[0:1], v[16:17] op_sel:[0,1,1] op_sel_hi:[1,1,0] neg_lo:[1,0,0] neg_hi:[1,0,0]
	v_pk_fma_f32 v[0:1], v[18:19], v[0:1], v[16:17] op_sel:[0,1,1] op_sel_hi:[1,1,0]
	v_mov_b32_e32 v32, v33
	v_mov_b32_e32 v1, v31
	;; [unrolled: 1-line block ×4, first 2 shown]
	v_pk_add_f32 v[46:47], v[4:5], v[8:9]
	v_pk_add_f32 v[48:49], v[12:13], v[8:9] neg_lo:[0,1] neg_hi:[0,1]
	v_pk_add_f32 v[8:9], v[8:9], v[2:3]
	v_pk_add_f32 v[2:3], v[0:1], v[2:3] neg_lo:[0,1] neg_hi:[0,1]
	v_mov_b32_e32 v34, v35
	v_mov_b32_e32 v35, v12
	;; [unrolled: 1-line block ×4, first 2 shown]
	v_pk_add_f32 v[48:49], v[48:49], v[2:3]
	v_pk_add_f32 v[2:3], v[46:47], v[12:13]
	v_mov_b32_e32 v7, v41
	v_mov_b32_e32 v39, v4
	v_pk_add_f32 v[40:41], v[34:35], v[30:31] neg_lo:[0,1] neg_hi:[0,1]
	v_pk_fma_f32 v[4:5], v[8:9], 0.5, v[4:5] op_sel_hi:[1,0,1] neg_lo:[1,0,0] neg_hi:[1,0,0]
	v_pk_add_f32 v[0:1], v[2:3], v[0:1]
	v_pk_add_f32 v[8:9], v[32:33], v[42:43] neg_lo:[0,1] neg_hi:[0,1]
	v_pk_add_f32 v[46:47], v[0:1], v[42:43] op_sel:[1,0] op_sel_hi:[0,1]
	v_pk_fma_f32 v[0:1], v[40:41], s[2:3], v[4:5] op_sel_hi:[1,0,1]
	v_pk_fma_f32 v[2:3], v[40:41], s[2:3], v[4:5] op_sel_hi:[1,0,1] neg_lo:[1,0,0] neg_hi:[1,0,0]
	v_pk_fma_f32 v[4:5], v[8:9], s[8:9], v[0:1] op_sel_hi:[1,0,1] neg_lo:[1,0,0] neg_hi:[1,0,0]
	v_pk_fma_f32 v[12:13], v[8:9], s[8:9], v[2:3] op_sel_hi:[1,0,1]
	v_mov_b32_e32 v15, v37
	v_pk_add_f32 v[18:19], v[28:29], v[6:7]
	v_mov_b32_e32 v0, v12
	v_mov_b32_e32 v1, v5
	v_pk_add_f32 v[50:51], v[6:7], v[44:45] neg_lo:[0,1] neg_hi:[0,1]
	v_pk_add_f32 v[18:19], v[18:19], v[10:11]
	v_pk_fma_f32 v[58:59], v[48:49], s[6:7], v[0:1] op_sel_hi:[1,0,1]
	v_pk_add_f32 v[0:1], v[10:11], v[14:15]
	v_pk_add_f32 v[16:17], v[10:11], v[14:15] neg_lo:[0,1] neg_hi:[0,1]
	v_pk_add_f32 v[36:37], v[10:11], v[6:7] neg_lo:[0,1] neg_hi:[0,1]
	v_pk_add_f32 v[52:53], v[6:7], v[44:45]
	v_pk_add_f32 v[56:57], v[14:15], v[44:45] neg_lo:[0,1] neg_hi:[0,1]
	v_pk_add_f32 v[18:19], v[18:19], v[14:15]
	v_pk_fma_f32 v[2:3], v[0:1], 0.5, v[28:29] op_sel_hi:[1,0,1] neg_lo:[1,0,0] neg_hi:[1,0,0]
	v_pk_add_f32 v[6:7], v[6:7], v[10:11] neg_lo:[0,1] neg_hi:[0,1]
	v_pk_add_f32 v[10:11], v[34:35], v[30:31]
	v_pk_add_f32 v[32:33], v[32:33], v[34:35] neg_lo:[0,1] neg_hi:[0,1]
	v_pk_mul_f32 v[34:35], v[50:51], s[2:3] op_sel_hi:[1,0]
	v_pk_add_f32 v[14:15], v[44:45], v[14:15] neg_lo:[0,1] neg_hi:[0,1]
	v_pk_fma_f32 v[52:53], v[52:53], 0.5, v[28:29] op_sel_hi:[1,0,1] neg_lo:[1,0,0] neg_hi:[1,0,0]
	v_pk_add_f32 v[14:15], v[6:7], v[14:15]
	v_pk_add_f32 v[6:7], v[2:3], v[34:35] op_sel:[0,1] op_sel_hi:[1,0] neg_lo:[0,1] neg_hi:[0,1]
	v_pk_add_f32 v[2:3], v[2:3], v[34:35] op_sel:[0,1] op_sel_hi:[1,0]
	v_pk_add_f32 v[36:37], v[36:37], v[56:57]
	v_pk_fma_f32 v[56:57], v[16:17], s[2:3], v[52:53] op_sel:[1,0,0] op_sel_hi:[0,0,1] neg_lo:[1,0,0] neg_hi:[1,0,0]
	v_pk_fma_f32 v[52:53], v[16:17], s[2:3], v[52:53] op_sel:[1,0,0] op_sel_hi:[0,0,1]
	v_pk_fma_f32 v[34:35], v[16:17], s[8:9], v[6:7] op_sel:[1,0,0] op_sel_hi:[0,0,1] neg_lo:[1,0,0] neg_hi:[1,0,0]
	v_pk_fma_f32 v[16:17], v[16:17], s[8:9], v[2:3] op_sel:[1,0,0] op_sel_hi:[0,0,1]
	v_mov_b32_e32 v2, v16
	v_mov_b32_e32 v3, v35
	v_pk_fma_f32 v[10:11], v[10:11], 0.5, v[38:39] op_sel_hi:[1,0,1] neg_lo:[1,0,0] neg_hi:[1,0,0]
	v_pk_fma_f32 v[38:39], v[14:15], s[6:7], v[2:3] op_sel_hi:[1,0,1]
	v_pk_mul_f32 v[2:3], v[8:9], s[2:3] op_sel_hi:[1,0]
	v_pk_add_f32 v[6:7], v[42:43], v[30:31] neg_lo:[0,1] neg_hi:[0,1]
	v_pk_mul_f32 v[28:29], v[40:41], s[8:9] op_sel_hi:[1,0]
	v_pk_add_f32 v[30:31], v[32:33], v[6:7]
	v_pk_add_f32 v[6:7], v[10:11], v[2:3] op_sel:[0,1] op_sel_hi:[1,0] neg_lo:[0,1] neg_hi:[0,1]
	v_pk_add_f32 v[2:3], v[10:11], v[2:3] op_sel:[0,1] op_sel_hi:[1,0]
	v_pk_add_f32 v[10:11], v[6:7], v[28:29] op_sel:[0,1] op_sel_hi:[1,0] neg_lo:[0,1] neg_hi:[0,1]
	v_pk_add_f32 v[28:29], v[2:3], v[28:29] op_sel:[0,1] op_sel_hi:[1,0]
	v_mov_b32_e32 v3, v11
	v_mov_b32_e32 v2, v28
	v_pk_fma_f32 v[2:3], v[30:31], s[6:7], v[2:3] op_sel_hi:[1,0,1]
	v_mov_b32_e32 v5, v13
	v_pk_mul_f32 v[54:55], v[50:51], s[8:9] op_sel_hi:[1,0]
	v_pk_mul_f32 v[6:7], v[2:3], s[8:9] op_sel_hi:[1,0]
	v_pk_fma_f32 v[4:5], v[48:49], s[6:7], v[4:5] op_sel_hi:[1,0,1]
	v_mov_b32_e32 v11, v29
	v_pk_add_f32 v[56:57], v[56:57], v[54:55] op_sel:[0,1] op_sel_hi:[1,0]
	v_pk_add_f32 v[52:53], v[52:53], v[54:55] op_sel:[0,1] op_sel_hi:[1,0] neg_lo:[0,1] neg_hi:[0,1]
	v_pk_fma_f32 v[8:9], v[2:3], s[14:15], v[6:7] op_sel:[0,0,1] op_sel_hi:[1,0,0] neg_lo:[0,0,1] neg_hi:[0,0,1]
	v_pk_fma_f32 v[32:33], v[2:3], s[14:15], v[6:7] op_sel:[0,0,1] op_sel_hi:[1,0,0]
	v_pk_mul_f32 v[6:7], v[4:5], s[2:3] op_sel_hi:[1,0]
	v_mov_b32_e32 v35, v17
	v_pk_fma_f32 v[10:11], v[30:31], s[6:7], v[10:11] op_sel_hi:[1,0,1]
	v_mov_b32_e32 v54, v52
	v_mov_b32_e32 v55, v57
	;; [unrolled: 1-line block ×4, first 2 shown]
	v_pk_fma_f32 v[8:9], v[4:5], s[6:7], v[6:7] op_sel:[0,0,1] op_sel_hi:[1,0,0] neg_lo:[0,0,1] neg_hi:[0,0,1]
	v_pk_fma_f32 v[4:5], v[4:5], s[6:7], v[6:7] op_sel:[0,0,1] op_sel_hi:[1,0,0]
	s_mov_b32 s3, s10
	v_pk_mul_f32 v[6:7], v[58:59], s[6:7] op_sel_hi:[1,0]
	v_pk_fma_f32 v[12:13], v[14:15], s[6:7], v[34:35] op_sel_hi:[1,0,1]
	v_pk_mul_f32 v[14:15], v[10:11], s[14:15] op_sel_hi:[1,0]
	v_mov_b32_e32 v17, 3
	v_pk_add_f32 v[18:19], v[18:19], v[44:45]
	v_pk_fma_f32 v[54:55], v[36:37], s[6:7], v[54:55] op_sel_hi:[1,0,1]
	v_pk_fma_f32 v[36:37], v[36:37], s[6:7], v[56:57] op_sel_hi:[1,0,1]
	v_mov_b32_e32 v40, v5
	v_mov_b32_e32 v41, v8
	v_pk_fma_f32 v[8:9], v[58:59], s[2:3], v[6:7] op_sel:[0,0,1] op_sel_hi:[1,1,0] neg_lo:[0,0,1] neg_hi:[0,0,1]
	v_pk_fma_f32 v[14:15], v[10:11], s[12:13], v[14:15] op_sel:[0,0,1] op_sel_hi:[1,1,0] neg_lo:[0,0,1] neg_hi:[0,0,1]
	v_mul_u32_u24_e32 v16, 0x320, v27
	v_lshlrev_b32_sdwa v17, v17, v60 dst_sel:DWORD dst_unused:UNUSED_PAD src0_sel:DWORD src1_sel:BYTE_0
	s_movk_i32 s2, 0x64
	v_pk_add_f32 v[0:1], v[18:19], v[46:47]
	v_pk_add_f32 v[2:3], v[38:39], v[32:33]
	;; [unrolled: 1-line block ×4, first 2 shown]
	v_pk_add_f32 v[8:9], v[54:55], v[8:9] neg_lo:[0,1] neg_hi:[0,1]
	v_pk_add_f32 v[10:11], v[12:13], v[14:15] op_sel:[0,1] op_sel_hi:[1,0] neg_lo:[0,1] neg_hi:[0,1]
	v_add3_u32 v22, 0, v16, v17
	v_pk_add_f32 v[12:13], v[12:13], v[14:15] op_sel:[0,1] op_sel_hi:[1,0]
	v_pk_add_f32 v[14:15], v[18:19], v[46:47] neg_lo:[0,1] neg_hi:[0,1]
	v_pk_add_f32 v[16:17], v[38:39], v[32:33] neg_lo:[0,1] neg_hi:[0,1]
	;; [unrolled: 1-line block ×3, first 2 shown]
	v_cmp_gt_u32_e32 vcc, s2, v26
	s_barrier
	ds_write2_b64 v22, v[0:1], v[2:3] offset1:10
	ds_write2_b64 v22, v[4:5], v[6:7] offset0:20 offset1:30
	ds_write2_b64 v22, v[12:13], v[14:15] offset0:40 offset1:50
	;; [unrolled: 1-line block ×4, first 2 shown]
	s_waitcnt lgkmcnt(0)
	s_barrier
	s_waitcnt lgkmcnt(0)
                                        ; implicit-def: $vgpr30
                                        ; implicit-def: $vgpr22
	s_and_saveexec_b64 s[2:3], vcc
	s_cbranch_execz .LBB0_13
; %bb.12:
	v_add_u32_e32 v4, 0x400, v120
	ds_read2_b64 v[0:3], v120 offset1:100
	ds_read2_b64 v[4:7], v4 offset0:72 offset1:172
	ds_read2_b64 v[12:15], v23 offset0:144 offset1:244
	;; [unrolled: 1-line block ×4, first 2 shown]
	v_add_u32_e32 v20, 0x1c00, v120
	ds_read2_b64 v[20:23], v20 offset0:104 offset1:204
	ds_read_b64 v[30:31], v120 offset:9600
.LBB0_13:
	s_or_b64 exec, exec, s[2:3]
	s_waitcnt lgkmcnt(0)
	s_barrier
	s_and_saveexec_b64 s[2:3], vcc
	s_cbranch_execz .LBB0_15
; %bb.14:
	v_add_u32_e32 v27, 0xffffff9c, v26
	v_cndmask_b32_e32 v27, v27, v26, vcc
	v_mul_i32_i24_e32 v28, 12, v27
	v_mov_b32_e32 v29, 0
	v_lshl_add_u64 v[28:29], v[28:29], 3, s[4:5]
	global_load_dwordx4 v[34:37], v[28:29], off offset:800
	global_load_dwordx4 v[38:41], v[28:29], off offset:784
	global_load_dwordx4 v[42:45], v[28:29], off offset:768
	global_load_dwordx4 v[46:49], v[28:29], off offset:752
	global_load_dwordx4 v[50:53], v[28:29], off offset:736
	global_load_dwordx4 v[54:57], v[28:29], off offset:720
	v_mov_b32_e32 v28, v31
	v_mov_b32_e32 v32, v23
	;; [unrolled: 1-line block ×10, first 2 shown]
	s_mov_b32 s22, 0x3f116cb1
	s_mov_b32 s23, 0xbf52af12
	s_mov_b32 s18, 0xbeb58ec6
	s_mov_b32 s8, s23
	s_mov_b32 s9, s22
	s_mov_b32 s19, 0xbf6f5d39
	s_mov_b32 s6, s19
	s_mov_b32 s7, s18
	s_mov_b32 s26, 0xbf788fa5
	s_mov_b32 s27, 0xbe750f2a
	s_mov_b32 s10, s27
	s_mov_b32 s11, s26
	s_mov_b32 s28, 0xbf3f9e67
	s_mov_b32 s29, 0xbf29c268
	s_mov_b32 s43, 0x3f29c268
	s_mov_b32 s42, s28
	s_mov_b32 s12, s43
	s_mov_b32 s13, s28
	s_mov_b32 s34, 0x3df6dbef
	s_mov_b32 s35, 0xbf7e222b
	s_mov_b32 s41, 0x3f7e222b
	s_mov_b32 s40, s34
	s_mov_b32 s16, s41
	s_mov_b32 s17, s34
	s_mov_b32 s39, 0xbeedf032
	s_mov_b32 s38, 0x3f62ad3f
	s_mov_b32 s14, s39
	s_mov_b32 s25, s38
	s_mov_b32 s20, s35
	s_mov_b32 s21, s34
	s_mov_b32 s31, 0x3f6f5d39
	s_mov_b32 s30, s18
	s_mov_b32 s36, s31
	s_mov_b32 s37, s18
	s_mov_b32 s47, 0x3e750f2a
	s_mov_b32 s46, s26
	s_mov_b32 s49, 0x3f52af12
	s_mov_b32 s48, s22
	s_mov_b32 s44, s49
	s_mov_b32 s45, s22
	s_mov_b32 s15, s38
	s_waitcnt vmcnt(5)
	v_pk_mul_f32 v[74:75], v[28:29], v[36:37] op_sel_hi:[0,1]
	v_pk_mul_f32 v[76:77], v[32:33], v[34:35] op_sel_hi:[0,1]
	s_waitcnt vmcnt(4)
	v_pk_mul_f32 v[58:59], v[58:59], v[40:41] op_sel_hi:[0,1]
	v_pk_mul_f32 v[78:79], v[10:11], v[38:39] op_sel:[1,0]
	s_waitcnt vmcnt(3)
	v_pk_mul_f32 v[80:81], v[8:9], v[44:45] op_sel:[1,0]
	v_pk_mul_f32 v[60:61], v[60:61], v[42:43] op_sel_hi:[0,1]
	s_waitcnt vmcnt(0)
	v_mov_b32_e32 v82, v57
	v_mov_b32_e32 v83, v56
	v_pk_mul_f32 v[62:63], v[62:63], v[48:49] op_sel_hi:[0,1]
	v_pk_mul_f32 v[64:65], v[64:65], v[46:47] op_sel_hi:[0,1]
	;; [unrolled: 1-line block ×3, first 2 shown]
	v_pk_mul_f32 v[84:85], v[2:3], v[54:55] op_sel:[0,1] op_sel_hi:[1,0]
	v_pk_fma_f32 v[28:29], v[30:31], v[36:37], v[74:75] op_sel:[0,0,1] op_sel_hi:[0,1,0] neg_lo:[0,0,1] neg_hi:[0,0,1]
	v_pk_fma_f32 v[30:31], v[30:31], v[36:37], v[74:75] op_sel:[0,0,1] op_sel_hi:[0,1,0]
	v_pk_fma_f32 v[32:33], v[22:23], v[34:35], v[76:77] op_sel:[0,0,1] op_sel_hi:[0,1,0] neg_lo:[0,0,1] neg_hi:[0,0,1]
	v_pk_fma_f32 v[22:23], v[22:23], v[34:35], v[76:77] op_sel:[0,0,1] op_sel_hi:[0,1,0]
	;; [unrolled: 2-line block ×6, first 2 shown]
	v_pk_mul_f32 v[42:43], v[70:71], v[82:83]
	v_pk_mul_f32 v[68:69], v[68:69], v[54:55] op_sel:[0,1] op_sel_hi:[1,0]
	v_pk_mul_f32 v[72:73], v[72:73], v[50:51] op_sel:[0,1] op_sel_hi:[1,0]
	;; [unrolled: 1-line block ×3, first 2 shown]
	v_pk_fma_f32 v[18:19], v[16:17], v[48:49], v[62:63] op_sel:[0,0,1] op_sel_hi:[1,1,0] neg_lo:[0,0,1] neg_hi:[0,0,1]
	v_pk_fma_f32 v[48:49], v[16:17], v[48:49], v[62:63] op_sel:[0,0,1] op_sel_hi:[0,1,0]
	v_pk_fma_f32 v[16:17], v[14:15], v[46:47], v[64:65] op_sel:[0,0,1] op_sel_hi:[1,1,0] neg_lo:[0,0,1] neg_hi:[0,0,1]
	v_pk_fma_f32 v[46:47], v[14:15], v[46:47], v[64:65] op_sel:[0,0,1] op_sel_hi:[0,1,0]
	;; [unrolled: 2-line block ×3, first 2 shown]
	v_mov_b32_e32 v40, v85
	v_pk_mul_f32 v[62:63], v[4:5], v[82:83]
	v_pk_fma_f32 v[42:43], v[4:5], v[56:57], v[42:43] neg_lo:[0,0,1] neg_hi:[0,0,1]
	v_pk_fma_f32 v[38:39], v[2:3], v[54:55], v[68:69] neg_lo:[0,0,1] neg_hi:[0,0,1]
	;; [unrolled: 1-line block ×3, first 2 shown]
	v_mov_b32_e32 v44, v87
	v_pk_fma_f32 v[64:65], v[2:3], v[54:55], v[40:41] op_sel:[0,1,0] op_sel_hi:[1,0,1]
	v_mov_b32_e32 v2, v63
	v_mov_b32_e32 v15, v53
	;; [unrolled: 1-line block ×4, first 2 shown]
	v_pk_add_f32 v[48:49], v[42:43], v[32:33] neg_lo:[0,1] neg_hi:[0,1]
	v_pk_add_f32 v[52:53], v[42:43], v[32:33]
	v_pk_fma_f32 v[40:41], v[6:7], v[50:51], v[44:45] op_sel:[0,1,0] op_sel_hi:[1,0,1]
	v_mov_b32_e32 v11, v45
	v_pk_add_f32 v[44:45], v[12:13], v[34:35] neg_lo:[0,1] neg_hi:[0,1]
	v_mov_b32_e32 v17, v47
	v_pk_add_f32 v[6:7], v[12:13], v[34:35]
	v_pk_fma_f32 v[46:47], v[4:5], v[82:83], v[2:3]
	v_mov_b32_e32 v53, v48
	v_pk_add_f32 v[48:49], v[18:19], v[8:9] neg_lo:[0,1] neg_hi:[0,1]
	v_pk_add_f32 v[50:51], v[38:39], v[28:29] neg_lo:[0,1] neg_hi:[0,1]
	v_pk_add_f32 v[88:89], v[38:39], v[28:29]
	v_mov_b32_e32 v7, v44
	v_pk_add_f32 v[44:45], v[18:19], v[8:9]
	v_mov_b32_e32 v63, v48
	v_mov_b32_e32 v48, v31
	;; [unrolled: 1-line block ×8, first 2 shown]
	v_pk_add_f32 v[84:85], v[64:65], v[48:49] neg_lo:[0,1] neg_hi:[0,1]
	v_pk_add_f32 v[48:49], v[26:27], v[22:23]
	v_mov_b32_e32 v22, v23
	v_pk_add_f32 v[50:51], v[12:13], v[30:31]
	v_pk_add_f32 v[56:57], v[14:15], v[20:21] neg_lo:[0,1] neg_hi:[0,1]
	v_pk_add_f32 v[2:3], v[14:15], v[20:21]
	v_pk_add_f32 v[60:61], v[16:17], v[10:11] neg_lo:[0,1] neg_hi:[0,1]
	;; [unrolled: 2-line block ×3, first 2 shown]
	v_mov_b32_e32 v50, v84
	v_pk_mul_f32 v[64:65], v[88:89], s[22:23]
	v_mov_b32_e32 v54, v2
	v_mov_b32_e32 v55, v56
	;; [unrolled: 1-line block ×7, first 2 shown]
	v_pk_fma_f32 v[56:57], v[84:85], s[8:9], v[64:65] neg_lo:[1,0,0] neg_hi:[1,0,0]
	v_pk_fma_f32 v[60:61], v[50:51], s[8:9], v[64:65]
	v_pk_mul_f32 v[68:69], v[52:53], s[18:19]
	v_mov_b32_e32 v57, v61
	v_pk_fma_f32 v[70:71], v[86:87], s[6:7], v[68:69] neg_lo:[1,0,0] neg_hi:[1,0,0]
	v_pk_fma_f32 v[66:67], v[48:49], s[6:7], v[68:69]
	v_pk_add_f32 v[56:57], v[0:1], v[56:57]
	v_mov_b32_e32 v71, v67
	v_mov_b32_e32 v27, v40
	;; [unrolled: 1-line block ×3, first 2 shown]
	v_pk_add_f32 v[74:75], v[70:71], v[56:57]
	v_pk_add_f32 v[56:57], v[26:27], v[36:37]
	v_pk_add_f32 v[94:95], v[40:41], v[22:23] neg_lo:[0,1] neg_hi:[0,1]
	v_pk_mul_f32 v[72:73], v[6:7], s[26:27]
	v_mov_b32_e32 v56, v94
	v_pk_fma_f32 v[76:77], v[94:95], s[10:11], v[72:73] neg_lo:[1,0,0] neg_hi:[1,0,0]
	v_pk_fma_f32 v[70:71], v[56:57], s[10:11], v[72:73]
	v_pk_mul_f32 v[82:83], v[58:59], s[40:41]
	v_mov_b32_e32 v77, v71
	v_pk_add_f32 v[78:79], v[76:77], v[74:75]
	v_pk_mul_f32 v[76:77], v[54:55], s[42:43]
	v_pk_fma_f32 v[90:91], v[4:5], s[16:17], v[82:83] neg_lo:[1,0,0] neg_hi:[1,0,0]
	v_pk_fma_f32 v[80:81], v[2:3], s[12:13], v[76:77] neg_lo:[1,0,0] neg_hi:[1,0,0]
	v_pk_fma_f32 v[74:75], v[2:3], s[12:13], v[76:77]
	v_pk_mul_f32 v[102:103], v[52:53], s[26:27]
	v_mov_b32_e32 v81, v75
	v_pk_add_f32 v[78:79], v[80:81], v[78:79]
	v_pk_fma_f32 v[80:81], v[4:5], s[16:17], v[82:83]
	v_pk_fma_f32 v[106:107], v[86:87], s[10:11], v[102:103] neg_lo:[1,0,0] neg_hi:[1,0,0]
	v_mov_b32_e32 v91, v81
	v_pk_add_f32 v[96:97], v[90:91], v[78:79]
	v_pk_mul_f32 v[78:79], v[88:89], s[38:39]
	s_mov_b32 s39, 0x3eedf032
	s_mov_b32 s24, s39
	v_pk_mul_f32 v[92:93], v[62:63], s[38:39]
	v_add_u32_e32 v22, 0x400, v120
	v_pk_fma_f32 v[98:99], v[44:45], s[24:25], v[92:93] neg_lo:[1,0,0] neg_hi:[1,0,0]
	v_pk_fma_f32 v[90:91], v[44:45], s[24:25], v[92:93]
	v_pk_mul_f32 v[128:129], v[52:53], s[42:43]
	v_mov_b32_e32 v99, v91
	v_pk_add_f32 v[122:123], v[98:99], v[96:97]
	v_pk_mul_f32 v[98:99], v[88:89], s[34:35]
	v_pk_fma_f32 v[130:131], v[86:87], s[12:13], v[128:129] neg_lo:[1,0,0] neg_hi:[1,0,0]
	v_pk_fma_f32 v[100:101], v[84:85], s[20:21], v[98:99] neg_lo:[1,0,0] neg_hi:[1,0,0]
	v_pk_fma_f32 v[96:97], v[50:51], s[20:21], v[98:99]
	v_pk_fma_f32 v[132:133], v[48:49], s[12:13], v[128:129]
	v_mov_b32_e32 v101, v97
	v_pk_add_f32 v[104:105], v[0:1], v[100:101]
	v_pk_fma_f32 v[100:101], v[48:49], s[10:11], v[102:103]
	v_mov_b32_e32 v131, v133
	v_mov_b32_e32 v107, v101
	v_pk_add_f32 v[108:109], v[106:107], v[104:105]
	v_pk_mul_f32 v[106:107], v[6:7], s[30:31]
	s_mov_b32 s30, s29
	v_pk_fma_f32 v[110:111], v[94:95], s[36:37], v[106:107] neg_lo:[1,0,0] neg_hi:[1,0,0]
	v_pk_fma_f32 v[104:105], v[56:57], s[36:37], v[106:107]
	s_mov_b32 s31, s28
	v_mov_b32_e32 v111, v105
	v_pk_add_f32 v[112:113], v[110:111], v[108:109]
	v_pk_mul_f32 v[110:111], v[54:55], s[38:39]
	s_mov_b32 s42, s47
	v_pk_fma_f32 v[114:115], v[2:3], s[24:25], v[110:111] neg_lo:[1,0,0] neg_hi:[1,0,0]
	v_pk_fma_f32 v[108:109], v[2:3], s[24:25], v[110:111]
	s_mov_b32 s43, s26
	v_mov_b32_e32 v115, v109
	v_pk_add_f32 v[116:117], v[114:115], v[112:113]
	v_pk_mul_f32 v[114:115], v[58:59], s[22:23]
	v_pk_mul_f32 v[154:155], v[52:53], s[40:41]
	v_pk_fma_f32 v[118:119], v[4:5], s[8:9], v[114:115] neg_lo:[1,0,0] neg_hi:[1,0,0]
	v_pk_fma_f32 v[112:113], v[4:5], s[8:9], v[114:115]
	v_pk_fma_f32 v[156:157], v[86:87], s[16:17], v[154:155] neg_lo:[1,0,0] neg_hi:[1,0,0]
	v_mov_b32_e32 v119, v113
	v_pk_add_f32 v[124:125], v[118:119], v[116:117]
	v_pk_mul_f32 v[118:119], v[62:63], s[28:29]
	v_pk_fma_f32 v[158:159], v[48:49], s[16:17], v[154:155]
	v_pk_fma_f32 v[126:127], v[44:45], s[30:31], v[118:119] neg_lo:[1,0,0] neg_hi:[1,0,0]
	v_pk_fma_f32 v[116:117], v[44:45], s[30:31], v[118:119]
	v_mov_b32_e32 v157, v159
	v_mov_b32_e32 v127, v117
	v_pk_add_f32 v[124:125], v[126:127], v[124:125]
	ds_write2_b64 v22, v[122:123], v[124:125] offset0:72 offset1:172
	v_pk_mul_f32 v[122:123], v[88:89], s[18:19]
	v_add_u32_e32 v22, 0x800, v120
	v_pk_fma_f32 v[124:125], v[84:85], s[6:7], v[122:123] neg_lo:[1,0,0] neg_hi:[1,0,0]
	v_pk_fma_f32 v[126:127], v[50:51], s[6:7], v[122:123]
	v_pk_fma_f32 v[122:123], v[50:51], s[6:7], v[122:123] neg_lo:[0,0,1] neg_hi:[0,0,1]
	v_mov_b32_e32 v125, v127
	v_pk_add_f32 v[124:125], v[0:1], v[124:125]
	v_mov_b32_e32 v127, v123
	v_pk_add_f32 v[124:125], v[130:131], v[124:125]
	v_pk_mul_f32 v[130:131], v[6:7], s[38:39]
	v_pk_fma_f32 v[122:123], v[48:49], s[12:13], v[128:129] neg_lo:[0,0,1] neg_hi:[0,0,1]
	v_pk_fma_f32 v[134:135], v[94:95], s[24:25], v[130:131] neg_lo:[1,0,0] neg_hi:[1,0,0]
	v_pk_fma_f32 v[136:137], v[56:57], s[24:25], v[130:131]
	v_mov_b32_e32 v133, v123
	v_mov_b32_e32 v135, v137
	v_pk_add_f32 v[124:125], v[134:135], v[124:125]
	v_pk_mul_f32 v[134:135], v[54:55], s[34:35]
	v_pk_add_f32 v[122:123], v[0:1], v[126:127]
	v_pk_fma_f32 v[138:139], v[2:3], s[20:21], v[134:135] neg_lo:[1,0,0] neg_hi:[1,0,0]
	v_pk_fma_f32 v[140:141], v[2:3], s[20:21], v[134:135]
	v_pk_add_f32 v[122:123], v[132:133], v[122:123]
	v_mov_b32_e32 v139, v141
	v_pk_add_f32 v[124:125], v[138:139], v[124:125]
	v_pk_mul_f32 v[138:139], v[58:59], s[46:47]
	v_mov_b32_e32 v30, v28
	v_pk_fma_f32 v[142:143], v[4:5], s[42:43], v[138:139] neg_lo:[1,0,0] neg_hi:[1,0,0]
	v_pk_fma_f32 v[144:145], v[4:5], s[42:43], v[138:139]
	v_pk_add_f32 v[28:29], v[0:1], v[12:13]
	v_mov_b32_e32 v143, v145
	v_pk_add_f32 v[124:125], v[142:143], v[124:125]
	v_pk_mul_f32 v[142:143], v[62:63], s[48:49]
	v_mov_b32_e32 v43, v46
	v_pk_fma_f32 v[146:147], v[44:45], s[44:45], v[142:143] neg_lo:[1,0,0] neg_hi:[1,0,0]
	v_pk_fma_f32 v[148:149], v[44:45], s[44:45], v[142:143]
	v_mov_b32_e32 v13, v40
	v_mov_b32_e32 v147, v149
	v_pk_add_f32 v[124:125], v[146:147], v[124:125]
	v_pk_mul_f32 v[146:147], v[88:89], s[28:29]
	v_pk_mul_f32 v[88:89], v[88:89], s[26:27]
	v_pk_fma_f32 v[150:151], v[84:85], s[30:31], v[146:147] neg_lo:[1,0,0] neg_hi:[1,0,0]
	v_pk_fma_f32 v[152:153], v[50:51], s[30:31], v[146:147]
	v_mov_b32_e32 v36, v34
	v_mov_b32_e32 v151, v153
	v_pk_add_f32 v[150:151], v[0:1], v[150:151]
	s_nop 0
	v_pk_add_f32 v[150:151], v[156:157], v[150:151]
	v_pk_mul_f32 v[156:157], v[6:7], s[22:23]
	s_nop 0
	v_pk_fma_f32 v[160:161], v[94:95], s[8:9], v[156:157] neg_lo:[1,0,0] neg_hi:[1,0,0]
	v_pk_fma_f32 v[162:163], v[56:57], s[8:9], v[156:157]
	s_nop 0
	v_mov_b32_e32 v161, v163
	v_pk_add_f32 v[150:151], v[160:161], v[150:151]
	v_pk_mul_f32 v[160:161], v[54:55], s[46:47]
	s_nop 0
	v_pk_fma_f32 v[164:165], v[2:3], s[42:43], v[160:161] neg_lo:[1,0,0] neg_hi:[1,0,0]
	v_pk_fma_f32 v[166:167], v[2:3], s[42:43], v[160:161]
	s_nop 0
	v_mov_b32_e32 v165, v167
	;; [unrolled: 7-line block ×4, first 2 shown]
	v_pk_add_f32 v[150:151], v[172:173], v[150:151]
	ds_write2_b64 v22, v[124:125], v[150:151] offset0:144 offset1:244
	v_pk_fma_f32 v[124:125], v[84:85], s[10:11], v[88:89] neg_lo:[1,0,0] neg_hi:[1,0,0]
	v_pk_fma_f32 v[150:151], v[50:51], s[10:11], v[88:89]
	v_pk_mul_f32 v[172:173], v[52:53], s[38:39]
	v_mov_b32_e32 v125, v151
	v_pk_fma_f32 v[176:177], v[86:87], s[24:25], v[172:173] neg_lo:[1,0,0] neg_hi:[1,0,0]
	v_pk_fma_f32 v[178:179], v[48:49], s[24:25], v[172:173]
	v_pk_add_f32 v[124:125], v[0:1], v[124:125]
	v_mov_b32_e32 v177, v179
	v_pk_add_f32 v[124:125], v[176:177], v[124:125]
	v_pk_mul_f32 v[176:177], v[6:7], s[28:29]
	v_pk_fma_f32 v[88:89], v[50:51], s[10:11], v[88:89] neg_lo:[0,0,1] neg_hi:[0,0,1]
	v_pk_fma_f32 v[180:181], v[94:95], s[30:31], v[176:177] neg_lo:[1,0,0] neg_hi:[1,0,0]
	v_pk_fma_f32 v[182:183], v[56:57], s[30:31], v[176:177]
	v_mov_b32_e32 v151, v89
	v_mov_b32_e32 v181, v183
	v_pk_add_f32 v[124:125], v[180:181], v[124:125]
	v_pk_mul_f32 v[180:181], v[54:55], s[48:49]
	v_pk_fma_f32 v[88:89], v[48:49], s[24:25], v[172:173] neg_lo:[0,0,1] neg_hi:[0,0,1]
	v_pk_fma_f32 v[184:185], v[2:3], s[44:45], v[180:181] neg_lo:[1,0,0] neg_hi:[1,0,0]
	v_pk_fma_f32 v[186:187], v[2:3], s[44:45], v[180:181]
	v_mov_b32_e32 v179, v89
	v_mov_b32_e32 v185, v187
	v_pk_add_f32 v[124:125], v[184:185], v[124:125]
	v_pk_mul_f32 v[184:185], v[58:59], s[18:19]
	v_pk_add_f32 v[88:89], v[0:1], v[150:151]
	v_pk_fma_f32 v[188:189], v[4:5], s[6:7], v[184:185] neg_lo:[1,0,0] neg_hi:[1,0,0]
	v_pk_fma_f32 v[190:191], v[4:5], s[6:7], v[184:185]
	v_pk_fma_f32 v[150:151], v[56:57], s[30:31], v[176:177] neg_lo:[0,0,1] neg_hi:[0,0,1]
	v_mov_b32_e32 v189, v191
	v_pk_add_f32 v[88:89], v[178:179], v[88:89]
	v_mov_b32_e32 v183, v151
	v_pk_fma_f32 v[150:151], v[2:3], s[44:45], v[180:181] neg_lo:[0,0,1] neg_hi:[0,0,1]
	v_pk_add_f32 v[124:125], v[188:189], v[124:125]
	v_pk_mul_f32 v[188:189], v[62:63], s[40:41]
	v_pk_add_f32 v[88:89], v[182:183], v[88:89]
	v_mov_b32_e32 v187, v151
	v_pk_fma_f32 v[150:151], v[4:5], s[6:7], v[184:185] neg_lo:[0,0,1] neg_hi:[0,0,1]
	v_pk_fma_f32 v[192:193], v[44:45], s[16:17], v[188:189] neg_lo:[1,0,0] neg_hi:[1,0,0]
	v_pk_fma_f32 v[194:195], v[44:45], s[16:17], v[188:189]
	v_pk_add_f32 v[88:89], v[186:187], v[88:89]
	v_mov_b32_e32 v191, v151
	v_pk_fma_f32 v[150:151], v[44:45], s[16:17], v[188:189] neg_lo:[0,0,1] neg_hi:[0,0,1]
	v_mov_b32_e32 v193, v195
	v_pk_add_f32 v[88:89], v[190:191], v[88:89]
	v_mov_b32_e32 v195, v151
	v_pk_add_f32 v[124:125], v[192:193], v[124:125]
	v_pk_add_f32 v[88:89], v[194:195], v[88:89]
	v_add_u32_e32 v22, 0x1000, v120
	ds_write2_b64 v22, v[124:125], v[88:89] offset0:88 offset1:188
	v_pk_fma_f32 v[124:125], v[56:57], s[8:9], v[156:157] neg_lo:[0,0,1] neg_hi:[0,0,1]
	v_pk_fma_f32 v[88:89], v[50:51], s[30:31], v[146:147] neg_lo:[0,0,1] neg_hi:[0,0,1]
	v_mov_b32_e32 v163, v125
	v_pk_fma_f32 v[124:125], v[2:3], s[42:43], v[160:161] neg_lo:[0,0,1] neg_hi:[0,0,1]
	v_mov_b32_e32 v153, v89
	v_mov_b32_e32 v167, v125
	v_pk_fma_f32 v[124:125], v[4:5], s[24:25], v[164:165] neg_lo:[0,0,1] neg_hi:[0,0,1]
	v_pk_fma_f32 v[88:89], v[48:49], s[16:17], v[154:155] neg_lo:[0,0,1] neg_hi:[0,0,1]
	v_mov_b32_e32 v171, v125
	v_pk_fma_f32 v[124:125], v[44:45], s[6:7], v[168:169] neg_lo:[0,0,1] neg_hi:[0,0,1]
	v_mov_b32_e32 v159, v89
	v_pk_add_f32 v[88:89], v[0:1], v[152:153]
	v_mov_b32_e32 v175, v125
	v_pk_fma_f32 v[124:125], v[56:57], s[24:25], v[130:131] neg_lo:[0,0,1] neg_hi:[0,0,1]
	v_pk_add_f32 v[88:89], v[158:159], v[88:89]
	v_mov_b32_e32 v137, v125
	v_pk_fma_f32 v[124:125], v[2:3], s[20:21], v[134:135] neg_lo:[0,0,1] neg_hi:[0,0,1]
	v_pk_add_f32 v[88:89], v[162:163], v[88:89]
	v_pk_add_f32 v[122:123], v[136:137], v[122:123]
	v_mov_b32_e32 v141, v125
	v_pk_fma_f32 v[124:125], v[4:5], s[42:43], v[138:139] neg_lo:[0,0,1] neg_hi:[0,0,1]
	v_pk_add_f32 v[88:89], v[166:167], v[88:89]
	v_pk_add_f32 v[122:123], v[140:141], v[122:123]
	v_mov_b32_e32 v145, v125
	v_pk_fma_f32 v[124:125], v[44:45], s[44:45], v[142:143] neg_lo:[0,0,1] neg_hi:[0,0,1]
	v_pk_add_f32 v[88:89], v[170:171], v[88:89]
	v_pk_add_f32 v[122:123], v[144:145], v[122:123]
	v_mov_b32_e32 v149, v125
	v_pk_add_f32 v[88:89], v[174:175], v[88:89]
	v_pk_add_f32 v[122:123], v[148:149], v[122:123]
	v_add_u32_e32 v22, 0x1800, v120
	ds_write2_b64 v22, v[88:89], v[122:123] offset0:32 offset1:132
	v_mov_b32_e32 v22, v32
	v_pk_add_f32 v[32:33], v[0:1], v[38:39]
	v_pk_mul_f32 v[6:7], v[6:7], s[34:35]
	v_mov_b32_e32 v33, v29
	v_pk_add_f32 v[28:29], v[32:33], v[42:43]
	s_nop 0
	v_pk_add_f32 v[12:13], v[28:29], v[12:13]
	s_nop 0
	v_pk_add_f32 v[12:13], v[12:13], v[14:15]
	v_pk_mul_f32 v[14:15], v[52:53], s[22:23]
	v_pk_add_f32 v[12:13], v[12:13], v[16:17]
	v_pk_fma_f32 v[16:17], v[86:87], s[8:9], v[14:15] neg_lo:[1,0,0] neg_hi:[1,0,0]
	v_pk_add_f32 v[12:13], v[12:13], v[18:19]
	v_pk_fma_f32 v[18:19], v[48:49], s[8:9], v[14:15]
	v_pk_add_f32 v[8:9], v[12:13], v[8:9]
	v_pk_fma_f32 v[12:13], v[50:51], s[14:15], v[78:79]
	v_pk_add_f32 v[8:9], v[8:9], v[10:11]
	v_pk_fma_f32 v[10:11], v[84:85], s[14:15], v[78:79] neg_lo:[1,0,0] neg_hi:[1,0,0]
	v_mov_b32_e32 v17, v19
	v_mov_b32_e32 v11, v13
	v_pk_add_f32 v[10:11], v[0:1], v[10:11]
	v_pk_add_f32 v[8:9], v[8:9], v[20:21]
	;; [unrolled: 1-line block ×3, first 2 shown]
	v_pk_fma_f32 v[16:17], v[94:95], s[20:21], v[6:7] neg_lo:[1,0,0] neg_hi:[1,0,0]
	v_pk_fma_f32 v[20:21], v[56:57], s[20:21], v[6:7]
	v_pk_add_f32 v[8:9], v[8:9], v[36:37]
	v_mov_b32_e32 v17, v21
	v_pk_add_f32 v[10:11], v[16:17], v[10:11]
	v_pk_mul_f32 v[16:17], v[54:55], s[18:19]
	v_pk_add_f32 v[8:9], v[8:9], v[22:23]
	v_pk_fma_f32 v[22:23], v[2:3], s[6:7], v[16:17] neg_lo:[1,0,0] neg_hi:[1,0,0]
	v_pk_fma_f32 v[28:29], v[2:3], s[6:7], v[16:17]
	v_pk_add_f32 v[8:9], v[8:9], v[30:31]
	v_mov_b32_e32 v23, v29
	v_pk_add_f32 v[10:11], v[22:23], v[10:11]
	v_pk_mul_f32 v[22:23], v[58:59], s[28:29]
	v_add_u32_e32 v13, 0x1c00, v120
	v_pk_fma_f32 v[30:31], v[4:5], s[30:31], v[22:23] neg_lo:[1,0,0] neg_hi:[1,0,0]
	v_pk_fma_f32 v[32:33], v[4:5], s[30:31], v[22:23]
	v_pk_fma_f32 v[6:7], v[56:57], s[20:21], v[6:7] neg_lo:[0,0,1] neg_hi:[0,0,1]
	v_mov_b32_e32 v31, v33
	v_pk_add_f32 v[10:11], v[30:31], v[10:11]
	v_pk_mul_f32 v[30:31], v[62:63], s[26:27]
	v_mov_b32_e32 v21, v7
	v_pk_fma_f32 v[34:35], v[44:45], s[10:11], v[30:31] neg_lo:[1,0,0] neg_hi:[1,0,0]
	v_pk_fma_f32 v[36:37], v[44:45], s[10:11], v[30:31]
	s_nop 0
	v_mov_b32_e32 v35, v37
	v_pk_add_f32 v[10:11], v[34:35], v[10:11]
	ds_write2_b64 v120, v[8:9], v[10:11] offset1:100
	v_pk_fma_f32 v[10:11], v[56:57], s[36:37], v[106:107] neg_lo:[0,0,1] neg_hi:[0,0,1]
	v_pk_fma_f32 v[8:9], v[50:51], s[20:21], v[98:99] neg_lo:[0,0,1] neg_hi:[0,0,1]
	v_mov_b32_e32 v105, v11
	v_pk_fma_f32 v[10:11], v[2:3], s[24:25], v[110:111] neg_lo:[0,0,1] neg_hi:[0,0,1]
	v_mov_b32_e32 v97, v9
	v_mov_b32_e32 v109, v11
	v_pk_fma_f32 v[10:11], v[4:5], s[8:9], v[114:115] neg_lo:[0,0,1] neg_hi:[0,0,1]
	v_pk_fma_f32 v[8:9], v[48:49], s[10:11], v[102:103] neg_lo:[0,0,1] neg_hi:[0,0,1]
	v_mov_b32_e32 v113, v11
	v_pk_fma_f32 v[10:11], v[44:45], s[30:31], v[118:119] neg_lo:[0,0,1] neg_hi:[0,0,1]
	v_mov_b32_e32 v101, v9
	v_mov_b32_e32 v117, v11
	v_pk_fma_f32 v[10:11], v[50:51], s[8:9], v[64:65] neg_lo:[0,0,1] neg_hi:[0,0,1]
	v_pk_add_f32 v[8:9], v[0:1], v[96:97]
	v_mov_b32_e32 v61, v11
	v_pk_fma_f32 v[10:11], v[48:49], s[6:7], v[68:69] neg_lo:[0,0,1] neg_hi:[0,0,1]
	v_pk_fma_f32 v[34:35], v[56:57], s[10:11], v[72:73] neg_lo:[0,0,1] neg_hi:[0,0,1]
	v_mov_b32_e32 v67, v11
	v_pk_add_f32 v[10:11], v[0:1], v[60:61]
	v_pk_add_f32 v[8:9], v[100:101], v[8:9]
	v_pk_add_f32 v[10:11], v[66:67], v[10:11]
	v_mov_b32_e32 v71, v35
	v_pk_fma_f32 v[34:35], v[2:3], s[12:13], v[76:77] neg_lo:[0,0,1] neg_hi:[0,0,1]
	v_pk_add_f32 v[8:9], v[104:105], v[8:9]
	v_pk_add_f32 v[10:11], v[70:71], v[10:11]
	v_mov_b32_e32 v75, v35
	v_pk_fma_f32 v[34:35], v[4:5], s[16:17], v[82:83] neg_lo:[0,0,1] neg_hi:[0,0,1]
	v_pk_add_f32 v[8:9], v[108:109], v[8:9]
	v_pk_add_f32 v[10:11], v[74:75], v[10:11]
	;; [unrolled: 4-line block ×3, first 2 shown]
	v_mov_b32_e32 v91, v35
	v_pk_add_f32 v[8:9], v[116:117], v[8:9]
	v_pk_add_f32 v[10:11], v[90:91], v[10:11]
	ds_write2_b64 v13, v[8:9], v[10:11] offset0:104 offset1:204
	v_pk_fma_f32 v[8:9], v[50:51], s[14:15], v[78:79] neg_lo:[0,0,1] neg_hi:[0,0,1]
	v_pk_fma_f32 v[2:3], v[2:3], s[6:7], v[16:17] neg_lo:[0,0,1] neg_hi:[0,0,1]
	v_mov_b32_e32 v13, v9
	v_pk_fma_f32 v[8:9], v[48:49], s[8:9], v[14:15] neg_lo:[0,0,1] neg_hi:[0,0,1]
	v_pk_add_f32 v[0:1], v[0:1], v[12:13]
	v_mov_b32_e32 v19, v9
	v_pk_add_f32 v[0:1], v[18:19], v[0:1]
	v_mov_b32_e32 v29, v3
	v_pk_add_f32 v[0:1], v[20:21], v[0:1]
	v_pk_fma_f32 v[2:3], v[4:5], s[30:31], v[22:23] neg_lo:[0,0,1] neg_hi:[0,0,1]
	v_pk_add_f32 v[0:1], v[28:29], v[0:1]
	v_mov_b32_e32 v33, v3
	v_pk_fma_f32 v[2:3], v[44:45], s[10:11], v[30:31] neg_lo:[0,0,1] neg_hi:[0,0,1]
	v_pk_add_f32 v[0:1], v[32:33], v[0:1]
	v_mov_b32_e32 v37, v3
	v_pk_add_f32 v[0:1], v[36:37], v[0:1]
	ds_write_b64 v120, v[0:1] offset:9600
.LBB0_15:
	s_or_b64 exec, exec, s[2:3]
	s_waitcnt lgkmcnt(0)
	s_barrier
	ds_read_b64 v[6:7], v120
	s_add_u32 s2, s4, 0x2850
	v_lshlrev_b32_e32 v0, 3, v26
	s_addc_u32 s3, s5, 0
	v_sub_u32_e32 v8, 0, v0
	v_cmp_ne_u32_e32 vcc, 0, v26
                                        ; implicit-def: $vgpr5
                                        ; implicit-def: $vgpr2_vgpr3
                                        ; implicit-def: $vgpr0_vgpr1
	s_and_saveexec_b64 s[4:5], vcc
	s_xor_b64 s[4:5], exec, s[4:5]
	s_cbranch_execz .LBB0_17
; %bb.16:
	v_mov_b32_e32 v27, 0
	v_lshl_add_u64 v[0:1], v[26:27], 3, s[2:3]
	global_load_dwordx2 v[0:1], v[0:1], off
	ds_read_b64 v[2:3], v8 offset:10400
	v_mov_b32_e32 v5, 0.5
	v_mov_b32_e32 v10, v5
	s_waitcnt lgkmcnt(0)
	v_pk_add_f32 v[12:13], v[2:3], v[6:7]
	v_pk_add_f32 v[2:3], v[6:7], v[2:3] neg_lo:[0,1] neg_hi:[0,1]
	v_mov_b32_e32 v6, v13
	v_mov_b32_e32 v7, v2
	v_pk_mul_f32 v[6:7], v[6:7], 0.5 op_sel_hi:[1,0]
	s_waitcnt vmcnt(0)
	v_mov_b32_e32 v4, v1
	v_mov_b32_e32 v2, v7
	;; [unrolled: 1-line block ×4, first 2 shown]
	v_pk_mul_f32 v[2:3], v[4:5], v[2:3]
	v_pk_mul_f32 v[14:15], v[0:1], v[6:7] op_sel_hi:[0,1]
	v_pk_fma_f32 v[16:17], v[12:13], v[10:11], v[2:3]
	v_pk_fma_f32 v[2:3], v[12:13], v[10:11], v[2:3] neg_lo:[0,0,1] neg_hi:[0,0,1]
	v_pk_fma_f32 v[4:5], v[0:1], v[6:7], v[16:17] op_sel_hi:[0,1,1] neg_lo:[1,0,0] neg_hi:[1,0,0]
	v_pk_fma_f32 v[2:3], v[0:1], v[6:7], v[2:3] op_sel_hi:[0,1,1] neg_lo:[1,0,0] neg_hi:[1,0,0]
	v_add_f32_e32 v4, v16, v14
	v_mov_b64_e32 v[0:1], v[26:27]
                                        ; implicit-def: $vgpr6_vgpr7
.LBB0_17:
	s_andn2_saveexec_b64 s[4:5], s[4:5]
	s_cbranch_execz .LBB0_19
; %bb.18:
	s_waitcnt lgkmcnt(0)
	v_mov_b32_e32 v0, v7
	v_pk_add_f32 v[2:3], v[6:7], v[0:1] neg_lo:[0,1] neg_hi:[0,1]
	v_add_f32_e32 v4, v7, v6
	v_mov_b32_e32 v3, 0
	ds_read_b32 v5, v3 offset:5204
	v_mov_b64_e32 v[0:1], 0
	s_waitcnt lgkmcnt(0)
	v_xor_b32_e32 v5, 0x80000000, v5
	ds_write_b32 v3, v5 offset:5204
	v_mov_b32_e32 v5, v3
.LBB0_19:
	s_or_b64 exec, exec, s[4:5]
	s_waitcnt lgkmcnt(0)
	v_lshl_add_u64 v[6:7], v[0:1], 3, s[2:3]
	global_load_dwordx2 v[10:11], v[6:7], off offset:1040
	global_load_dwordx2 v[12:13], v[6:7], off offset:2080
	;; [unrolled: 1-line block ×3, first 2 shown]
	s_movk_i32 s2, 0x1000
	v_add_co_u32_e32 v6, vcc, s2, v6
	v_mov_b32_e32 v17, 0.5
	s_nop 0
	v_addc_co_u32_e32 v7, vcc, 0, v7, vcc
	global_load_dwordx2 v[6:7], v[6:7], off offset:64
	ds_write_b64 v120, v[4:5]
	ds_write_b64 v8, v[2:3] offset:10400
	ds_read_b64 v[2:3], v120 offset:1040
	ds_read_b64 v[4:5], v8 offset:9360
	v_mov_b32_e32 v18, v17
	s_waitcnt lgkmcnt(0)
	v_pk_add_f32 v[20:21], v[2:3], v[4:5]
	v_pk_add_f32 v[2:3], v[2:3], v[4:5] neg_lo:[0,1] neg_hi:[0,1]
	v_mov_b32_e32 v4, v21
	v_mov_b32_e32 v5, v2
	v_pk_mul_f32 v[4:5], v[4:5], 0.5 op_sel_hi:[1,0]
	s_waitcnt vmcnt(3)
	v_mov_b32_e32 v19, v11
	v_mov_b32_e32 v21, v4
	;; [unrolled: 1-line block ×4, first 2 shown]
	v_pk_mul_f32 v[18:19], v[20:21], v[18:19]
	s_nop 0
	v_pk_fma_f32 v[20:21], v[16:17], v[2:3], v[18:19] neg_lo:[1,0,0] neg_hi:[1,0,0]
	v_pk_fma_f32 v[2:3], v[16:17], v[2:3], v[18:19]
	v_pk_fma_f32 v[18:19], v[10:11], v[4:5], v[20:21] op_sel_hi:[0,1,1] neg_lo:[1,0,0] neg_hi:[1,0,0]
	v_pk_fma_f32 v[20:21], v[10:11], v[4:5], v[2:3] op_sel_hi:[0,1,1]
	v_pk_fma_f32 v[2:3], v[10:11], v[4:5], v[2:3] op_sel_hi:[0,1,1] neg_lo:[1,0,0] neg_hi:[1,0,0]
	v_mov_b32_e32 v21, v3
	ds_write_b64 v120, v[20:21] offset:1040
	ds_write_b64 v8, v[18:19] offset:9360
	ds_read_b64 v[2:3], v120 offset:2080
	ds_read_b64 v[4:5], v8 offset:8320
	v_mov_b32_e32 v10, v17
	s_waitcnt vmcnt(2)
	v_mov_b32_e32 v11, v13
	v_mov_b32_e32 v16, v13
	s_waitcnt lgkmcnt(0)
	v_pk_add_f32 v[18:19], v[2:3], v[4:5]
	v_pk_add_f32 v[2:3], v[2:3], v[4:5] neg_lo:[0,1] neg_hi:[0,1]
	v_mov_b32_e32 v4, v19
	v_mov_b32_e32 v5, v2
	v_pk_mul_f32 v[4:5], v[4:5], 0.5 op_sel_hi:[1,0]
	s_nop 0
	v_mov_b32_e32 v19, v4
	v_mov_b32_e32 v2, v5
	v_pk_mul_f32 v[10:11], v[18:19], v[10:11]
	s_nop 0
	v_pk_fma_f32 v[18:19], v[16:17], v[2:3], v[10:11] neg_lo:[1,0,0] neg_hi:[1,0,0]
	v_pk_fma_f32 v[2:3], v[16:17], v[2:3], v[10:11]
	v_pk_fma_f32 v[10:11], v[12:13], v[4:5], v[18:19] op_sel_hi:[0,1,1] neg_lo:[1,0,0] neg_hi:[1,0,0]
	v_pk_fma_f32 v[18:19], v[12:13], v[4:5], v[2:3] op_sel_hi:[0,1,1]
	v_pk_fma_f32 v[2:3], v[12:13], v[4:5], v[2:3] op_sel_hi:[0,1,1] neg_lo:[1,0,0] neg_hi:[1,0,0]
	v_mov_b32_e32 v19, v3
	ds_write_b64 v120, v[18:19] offset:2080
	ds_write_b64 v8, v[10:11] offset:8320
	ds_read_b64 v[2:3], v120 offset:3120
	ds_read_b64 v[4:5], v8 offset:7280
	v_mov_b32_e32 v10, v17
	s_waitcnt vmcnt(1)
	v_mov_b32_e32 v11, v15
	v_mov_b32_e32 v16, v15
	s_waitcnt lgkmcnt(0)
	v_pk_add_f32 v[12:13], v[2:3], v[4:5]
	v_pk_add_f32 v[2:3], v[2:3], v[4:5] neg_lo:[0,1] neg_hi:[0,1]
	v_mov_b32_e32 v4, v13
	v_mov_b32_e32 v5, v2
	v_pk_mul_f32 v[4:5], v[4:5], 0.5 op_sel_hi:[1,0]
	s_nop 0
	v_mov_b32_e32 v13, v4
	v_mov_b32_e32 v2, v5
	;; [unrolled: 25-line block ×3, first 2 shown]
	v_pk_mul_f32 v[10:11], v[12:13], v[10:11]
	s_nop 0
	v_pk_fma_f32 v[12:13], v[16:17], v[2:3], v[10:11] neg_lo:[1,0,0] neg_hi:[1,0,0]
	v_pk_fma_f32 v[2:3], v[16:17], v[2:3], v[10:11]
	v_pk_fma_f32 v[10:11], v[6:7], v[4:5], v[12:13] op_sel_hi:[0,1,1] neg_lo:[1,0,0] neg_hi:[1,0,0]
	v_pk_fma_f32 v[12:13], v[6:7], v[4:5], v[2:3] op_sel_hi:[0,1,1]
	v_pk_fma_f32 v[2:3], v[6:7], v[4:5], v[2:3] op_sel_hi:[0,1,1] neg_lo:[1,0,0] neg_hi:[1,0,0]
	v_mov_b32_e32 v13, v3
	ds_write_b64 v120, v[12:13] offset:4160
	ds_write_b64 v8, v[10:11] offset:6240
	s_waitcnt lgkmcnt(0)
	s_barrier
	s_and_saveexec_b64 s[2:3], s[0:1]
	s_cbranch_execz .LBB0_22
; %bb.20:
	ds_read2_b64 v[2:5], v120 offset1:130
	v_add_u32_e32 v6, 0x800, v120
	ds_read2_b64 v[6:9], v6 offset0:4 offset1:134
	v_lshl_add_u64 v[10:11], v[0:1], 3, v[24:25]
	v_add_u32_e32 v0, 0x1000, v120
	s_waitcnt lgkmcnt(1)
	global_store_dwordx2 v[10:11], v[2:3], off
	global_store_dwordx2 v[10:11], v[4:5], off offset:1040
	s_waitcnt lgkmcnt(0)
	global_store_dwordx2 v[10:11], v[6:7], off offset:2080
	global_store_dwordx2 v[10:11], v[8:9], off offset:3120
	ds_read2_b64 v[0:3], v0 offset0:8 offset1:138
	v_add_u32_e32 v4, 0x1800, v120
	ds_read2_b64 v[4:7], v4 offset0:12 offset1:142
	v_add_co_u32_e32 v8, vcc, 0x1000, v10
	s_movk_i32 s0, 0x81
	s_nop 0
	v_addc_co_u32_e32 v9, vcc, 0, v11, vcc
	s_waitcnt lgkmcnt(1)
	global_store_dwordx2 v[8:9], v[0:1], off offset:64
	global_store_dwordx2 v[8:9], v[2:3], off offset:1104
	s_waitcnt lgkmcnt(0)
	global_store_dwordx2 v[8:9], v[4:5], off offset:2144
	global_store_dwordx2 v[8:9], v[6:7], off offset:3184
	v_add_u32_e32 v0, 0x2000, v120
	ds_read2_b64 v[0:3], v0 offset0:16 offset1:146
	v_add_co_u32_e32 v4, vcc, 0x2000, v10
	s_nop 1
	v_addc_co_u32_e32 v5, vcc, 0, v11, vcc
	v_cmp_eq_u32_e32 vcc, s0, v26
	s_waitcnt lgkmcnt(0)
	global_store_dwordx2 v[4:5], v[0:1], off offset:128
	global_store_dwordx2 v[4:5], v[2:3], off offset:1168
	s_and_b64 exec, exec, vcc
	s_cbranch_execz .LBB0_22
; %bb.21:
	v_mov_b32_e32 v0, 0
	ds_read_b64 v[0:1], v0 offset:10400
	v_add_co_u32_e32 v2, vcc, 0x2000, v24
	s_nop 1
	v_addc_co_u32_e32 v3, vcc, 0, v25, vcc
	s_waitcnt lgkmcnt(0)
	global_store_dwordx2 v[2:3], v[0:1], off offset:2208
.LBB0_22:
	s_endpgm
	.section	.rodata,"a",@progbits
	.p2align	6, 0x0
	.amdhsa_kernel fft_rtc_fwd_len1300_factors_10_10_13_wgs_130_tpt_130_sp_ip_CI_unitstride_sbrr_R2C_dirReg
		.amdhsa_group_segment_fixed_size 0
		.amdhsa_private_segment_fixed_size 0
		.amdhsa_kernarg_size 88
		.amdhsa_user_sgpr_count 2
		.amdhsa_user_sgpr_dispatch_ptr 0
		.amdhsa_user_sgpr_queue_ptr 0
		.amdhsa_user_sgpr_kernarg_segment_ptr 1
		.amdhsa_user_sgpr_dispatch_id 0
		.amdhsa_user_sgpr_kernarg_preload_length 0
		.amdhsa_user_sgpr_kernarg_preload_offset 0
		.amdhsa_user_sgpr_private_segment_size 0
		.amdhsa_uses_dynamic_stack 0
		.amdhsa_enable_private_segment 0
		.amdhsa_system_sgpr_workgroup_id_x 1
		.amdhsa_system_sgpr_workgroup_id_y 0
		.amdhsa_system_sgpr_workgroup_id_z 0
		.amdhsa_system_sgpr_workgroup_info 0
		.amdhsa_system_vgpr_workitem_id 0
		.amdhsa_next_free_vgpr 196
		.amdhsa_next_free_sgpr 50
		.amdhsa_accum_offset 196
		.amdhsa_reserve_vcc 1
		.amdhsa_float_round_mode_32 0
		.amdhsa_float_round_mode_16_64 0
		.amdhsa_float_denorm_mode_32 3
		.amdhsa_float_denorm_mode_16_64 3
		.amdhsa_dx10_clamp 1
		.amdhsa_ieee_mode 1
		.amdhsa_fp16_overflow 0
		.amdhsa_tg_split 0
		.amdhsa_exception_fp_ieee_invalid_op 0
		.amdhsa_exception_fp_denorm_src 0
		.amdhsa_exception_fp_ieee_div_zero 0
		.amdhsa_exception_fp_ieee_overflow 0
		.amdhsa_exception_fp_ieee_underflow 0
		.amdhsa_exception_fp_ieee_inexact 0
		.amdhsa_exception_int_div_zero 0
	.end_amdhsa_kernel
	.text
.Lfunc_end0:
	.size	fft_rtc_fwd_len1300_factors_10_10_13_wgs_130_tpt_130_sp_ip_CI_unitstride_sbrr_R2C_dirReg, .Lfunc_end0-fft_rtc_fwd_len1300_factors_10_10_13_wgs_130_tpt_130_sp_ip_CI_unitstride_sbrr_R2C_dirReg
                                        ; -- End function
	.section	.AMDGPU.csdata,"",@progbits
; Kernel info:
; codeLenInByte = 8252
; NumSgprs: 56
; NumVgprs: 196
; NumAgprs: 0
; TotalNumVgprs: 196
; ScratchSize: 0
; MemoryBound: 0
; FloatMode: 240
; IeeeMode: 1
; LDSByteSize: 0 bytes/workgroup (compile time only)
; SGPRBlocks: 6
; VGPRBlocks: 24
; NumSGPRsForWavesPerEU: 56
; NumVGPRsForWavesPerEU: 196
; AccumOffset: 196
; Occupancy: 2
; WaveLimiterHint : 1
; COMPUTE_PGM_RSRC2:SCRATCH_EN: 0
; COMPUTE_PGM_RSRC2:USER_SGPR: 2
; COMPUTE_PGM_RSRC2:TRAP_HANDLER: 0
; COMPUTE_PGM_RSRC2:TGID_X_EN: 1
; COMPUTE_PGM_RSRC2:TGID_Y_EN: 0
; COMPUTE_PGM_RSRC2:TGID_Z_EN: 0
; COMPUTE_PGM_RSRC2:TIDIG_COMP_CNT: 0
; COMPUTE_PGM_RSRC3_GFX90A:ACCUM_OFFSET: 48
; COMPUTE_PGM_RSRC3_GFX90A:TG_SPLIT: 0
	.text
	.p2alignl 6, 3212836864
	.fill 256, 4, 3212836864
	.type	__hip_cuid_c35eefd9c603e59b,@object ; @__hip_cuid_c35eefd9c603e59b
	.section	.bss,"aw",@nobits
	.globl	__hip_cuid_c35eefd9c603e59b
__hip_cuid_c35eefd9c603e59b:
	.byte	0                               ; 0x0
	.size	__hip_cuid_c35eefd9c603e59b, 1

	.ident	"AMD clang version 19.0.0git (https://github.com/RadeonOpenCompute/llvm-project roc-6.4.0 25133 c7fe45cf4b819c5991fe208aaa96edf142730f1d)"
	.section	".note.GNU-stack","",@progbits
	.addrsig
	.addrsig_sym __hip_cuid_c35eefd9c603e59b
	.amdgpu_metadata
---
amdhsa.kernels:
  - .agpr_count:     0
    .args:
      - .actual_access:  read_only
        .address_space:  global
        .offset:         0
        .size:           8
        .value_kind:     global_buffer
      - .offset:         8
        .size:           8
        .value_kind:     by_value
      - .actual_access:  read_only
        .address_space:  global
        .offset:         16
        .size:           8
        .value_kind:     global_buffer
      - .actual_access:  read_only
        .address_space:  global
        .offset:         24
        .size:           8
        .value_kind:     global_buffer
      - .offset:         32
        .size:           8
        .value_kind:     by_value
      - .actual_access:  read_only
        .address_space:  global
        .offset:         40
        .size:           8
        .value_kind:     global_buffer
      - .actual_access:  read_only
        .address_space:  global
        .offset:         48
        .size:           8
        .value_kind:     global_buffer
      - .offset:         56
        .size:           4
        .value_kind:     by_value
      - .actual_access:  read_only
        .address_space:  global
        .offset:         64
        .size:           8
        .value_kind:     global_buffer
      - .actual_access:  read_only
        .address_space:  global
        .offset:         72
        .size:           8
        .value_kind:     global_buffer
      - .address_space:  global
        .offset:         80
        .size:           8
        .value_kind:     global_buffer
    .group_segment_fixed_size: 0
    .kernarg_segment_align: 8
    .kernarg_segment_size: 88
    .language:       OpenCL C
    .language_version:
      - 2
      - 0
    .max_flat_workgroup_size: 130
    .name:           fft_rtc_fwd_len1300_factors_10_10_13_wgs_130_tpt_130_sp_ip_CI_unitstride_sbrr_R2C_dirReg
    .private_segment_fixed_size: 0
    .sgpr_count:     56
    .sgpr_spill_count: 0
    .symbol:         fft_rtc_fwd_len1300_factors_10_10_13_wgs_130_tpt_130_sp_ip_CI_unitstride_sbrr_R2C_dirReg.kd
    .uniform_work_group_size: 1
    .uses_dynamic_stack: false
    .vgpr_count:     196
    .vgpr_spill_count: 0
    .wavefront_size: 64
amdhsa.target:   amdgcn-amd-amdhsa--gfx950
amdhsa.version:
  - 1
  - 2
...

	.end_amdgpu_metadata
